;; amdgpu-corpus repo=ROCm/rocFFT kind=compiled arch=gfx906 opt=O3
	.text
	.amdgcn_target "amdgcn-amd-amdhsa--gfx906"
	.amdhsa_code_object_version 6
	.protected	bluestein_single_fwd_len132_dim1_half_op_CI_CI ; -- Begin function bluestein_single_fwd_len132_dim1_half_op_CI_CI
	.globl	bluestein_single_fwd_len132_dim1_half_op_CI_CI
	.p2align	8
	.type	bluestein_single_fwd_len132_dim1_half_op_CI_CI,@function
bluestein_single_fwd_len132_dim1_half_op_CI_CI: ; @bluestein_single_fwd_len132_dim1_half_op_CI_CI
; %bb.0:
	v_mul_u32_u24_e32 v1, 0xba3, v0
	s_load_dwordx4 s[0:3], s[4:5], 0x28
	v_lshrrev_b32_e32 v1, 16, v1
	v_mad_u64_u32 v[4:5], s[6:7], s6, 5, v[1:2]
	v_mov_b32_e32 v5, 0
	s_waitcnt lgkmcnt(0)
	v_cmp_gt_u64_e32 vcc, s[0:1], v[4:5]
	s_and_saveexec_b64 s[0:1], vcc
	s_cbranch_execz .LBB0_15
; %bb.1:
	s_mov_b32 s0, 0xcccccccd
	v_mul_hi_u32 v2, v4, s0
	v_mul_lo_u16_e32 v1, 22, v1
	s_load_dwordx2 s[6:7], s[4:5], 0x0
	s_load_dwordx2 s[12:13], s[4:5], 0x38
	v_sub_u16_e32 v15, v0, v1
	v_lshrrev_b32_e32 v0, 2, v2
	v_lshl_add_u32 v0, v0, 2, v0
	v_sub_u32_e32 v0, v4, v0
	v_mul_u32_u24_e32 v18, 0x84, v0
	v_cmp_gt_u16_e32 vcc, 12, v15
	v_lshlrev_b32_e32 v16, 2, v15
	v_lshlrev_b32_e32 v19, 2, v18
	v_or_b32_e32 v17, 48, v15
	s_and_saveexec_b64 s[14:15], vcc
	s_cbranch_execz .LBB0_3
; %bb.2:
	s_load_dwordx2 s[0:1], s[4:5], 0x18
	v_or_b32_e32 v9, 0x60, v15
	v_mov_b32_e32 v14, 0x60
	s_waitcnt lgkmcnt(0)
	s_load_dwordx4 s[8:11], s[0:1], 0x0
	s_waitcnt lgkmcnt(0)
	v_mad_u64_u32 v[0:1], s[0:1], s10, v4, 0
	v_mad_u64_u32 v[2:3], s[0:1], s8, v15, 0
	s_mul_i32 s10, s8, 48
	v_mad_u64_u32 v[5:6], s[0:1], s11, v4, v[1:2]
	v_mad_u64_u32 v[6:7], s[0:1], s9, v15, v[3:4]
	v_mov_b32_e32 v1, v5
	v_lshlrev_b64 v[0:1], 2, v[0:1]
	v_mov_b32_e32 v3, v6
	v_mov_b32_e32 v7, s3
	v_lshlrev_b64 v[2:3], 2, v[2:3]
	v_add_co_u32_e64 v10, s[0:1], s2, v0
	v_addc_co_u32_e64 v11, s[0:1], v7, v1, s[0:1]
	v_add_co_u32_e64 v0, s[0:1], v10, v2
	v_addc_co_u32_e64 v1, s[0:1], v11, v3, s[0:1]
	v_mad_u64_u32 v[2:3], s[0:1], s8, v17, 0
	v_mad_u64_u32 v[5:6], s[0:1], s8, v9, 0
	;; [unrolled: 1-line block ×3, first 2 shown]
	global_load_dword v12, v[0:1], off
	global_load_dword v13, v16, s[6:7]
	s_mul_i32 s2, s9, 48
	s_mul_hi_u32 s3, s8, 48
	s_add_i32 s2, s3, s2
	v_mad_u64_u32 v[8:9], s[0:1], s9, v9, v[6:7]
	v_mov_b32_e32 v20, s2
	v_add_co_u32_e64 v0, s[0:1], s10, v0
	v_addc_co_u32_e64 v1, s[0:1], v1, v20, s[0:1]
	global_load_dword v9, v[0:1], off
	global_load_dword v20, v16, s[6:7] offset:48
	global_load_dword v21, v16, s[6:7] offset:96
	;; [unrolled: 1-line block ×7, first 2 shown]
	v_mov_b32_e32 v3, s2
	v_add_co_u32_e64 v0, s[0:1], s10, v0
	v_addc_co_u32_e64 v1, s[0:1], v1, v3, s[0:1]
	global_load_dword v27, v[0:1], off
	v_mov_b32_e32 v3, v7
	v_mov_b32_e32 v6, s2
	v_add_co_u32_e64 v0, s[0:1], s10, v0
	v_addc_co_u32_e64 v1, s[0:1], v1, v6, s[0:1]
	v_lshlrev_b64 v[2:3], 2, v[2:3]
	global_load_dword v7, v[0:1], off
	v_add_co_u32_e64 v2, s[0:1], v10, v2
	v_addc_co_u32_e64 v3, s[0:1], v11, v3, s[0:1]
	global_load_dword v28, v[2:3], off
	v_mad_u64_u32 v[0:1], s[0:1], s8, v14, v[0:1]
	s_mul_i32 s3, s9, 0x60
	v_mov_b32_e32 v6, v8
	v_add_u32_e32 v1, s3, v1
	v_lshlrev_b64 v[2:3], 2, v[5:6]
	global_load_dword v5, v[0:1], off
	v_mov_b32_e32 v6, s2
	v_add_co_u32_e64 v0, s[0:1], s10, v0
	v_addc_co_u32_e64 v1, s[0:1], v1, v6, s[0:1]
	global_load_dword v6, v[0:1], off
	v_mov_b32_e32 v8, s2
	v_add_co_u32_e64 v0, s[0:1], s10, v0
	v_addc_co_u32_e64 v1, s[0:1], v1, v8, s[0:1]
	global_load_dword v8, v[0:1], off
	v_add_co_u32_e64 v2, s[0:1], v10, v2
	v_addc_co_u32_e64 v3, s[0:1], v11, v3, s[0:1]
	v_mad_u64_u32 v[0:1], s[0:1], s8, v14, v[0:1]
	global_load_dword v10, v[2:3], off
	global_load_dword v11, v16, s[6:7] offset:384
	v_mov_b32_e32 v2, s2
	v_add_u32_e32 v1, s3, v1
	global_load_dword v3, v[0:1], off
	global_load_dword v14, v16, s[6:7] offset:432
	v_add_co_u32_e64 v0, s[0:1], s10, v0
	v_addc_co_u32_e64 v1, s[0:1], v1, v2, s[0:1]
	global_load_dword v2, v[0:1], off
	global_load_dword v29, v16, s[6:7] offset:480
	s_waitcnt vmcnt(21)
	v_lshrrev_b32_e32 v0, 16, v12
	s_waitcnt vmcnt(20)
	v_mul_f16_sdwa v1, v13, v12 dst_sel:DWORD dst_unused:UNUSED_PAD src0_sel:WORD_1 src1_sel:DWORD
	v_mul_f16_sdwa v30, v13, v0 dst_sel:DWORD dst_unused:UNUSED_PAD src0_sel:WORD_1 src1_sel:DWORD
	v_fma_f16 v0, v13, v0, -v1
	v_fma_f16 v1, v13, v12, v30
	v_pack_b32_f16 v0, v1, v0
	v_lshl_add_u32 v1, v15, 2, v19
	ds_write_b32 v1, v0
	s_waitcnt vmcnt(19)
	v_lshrrev_b32_e32 v0, 16, v9
	s_waitcnt vmcnt(18)
	v_mul_f16_sdwa v1, v20, v0 dst_sel:DWORD dst_unused:UNUSED_PAD src0_sel:WORD_1 src1_sel:DWORD
	v_fma_f16 v1, v20, v9, v1
	v_mul_f16_sdwa v9, v20, v9 dst_sel:DWORD dst_unused:UNUSED_PAD src0_sel:WORD_1 src1_sel:DWORD
	v_fma_f16 v0, v20, v0, -v9
	v_pack_b32_f16 v0, v1, v0
	v_add_u32_e32 v9, v19, v16
	s_waitcnt vmcnt(11)
	v_lshrrev_b32_e32 v1, 16, v27
	v_mul_f16_sdwa v12, v21, v1 dst_sel:DWORD dst_unused:UNUSED_PAD src0_sel:WORD_1 src1_sel:DWORD
	v_mul_f16_sdwa v13, v21, v27 dst_sel:DWORD dst_unused:UNUSED_PAD src0_sel:WORD_1 src1_sel:DWORD
	v_fma_f16 v12, v21, v27, v12
	v_fma_f16 v1, v21, v1, -v13
	v_pack_b32_f16 v1, v12, v1
	ds_write2_b32 v9, v0, v1 offset0:12 offset1:24
	s_waitcnt vmcnt(10)
	v_lshrrev_b32_e32 v0, 16, v7
	v_mul_f16_sdwa v1, v22, v0 dst_sel:DWORD dst_unused:UNUSED_PAD src0_sel:WORD_1 src1_sel:DWORD
	v_fma_f16 v1, v22, v7, v1
	v_mul_f16_sdwa v7, v22, v7 dst_sel:DWORD dst_unused:UNUSED_PAD src0_sel:WORD_1 src1_sel:DWORD
	v_fma_f16 v0, v22, v0, -v7
	v_pack_b32_f16 v0, v1, v0
	s_waitcnt vmcnt(9)
	v_lshrrev_b32_e32 v1, 16, v28
	v_mul_f16_sdwa v7, v23, v1 dst_sel:DWORD dst_unused:UNUSED_PAD src0_sel:WORD_1 src1_sel:DWORD
	v_mul_f16_sdwa v12, v23, v28 dst_sel:DWORD dst_unused:UNUSED_PAD src0_sel:WORD_1 src1_sel:DWORD
	v_fma_f16 v7, v23, v28, v7
	v_fma_f16 v1, v23, v1, -v12
	v_pack_b32_f16 v1, v7, v1
	ds_write2_b32 v9, v0, v1 offset0:36 offset1:48
	s_waitcnt vmcnt(8)
	v_lshrrev_b32_e32 v0, 16, v5
	v_mul_f16_sdwa v1, v24, v0 dst_sel:DWORD dst_unused:UNUSED_PAD src0_sel:WORD_1 src1_sel:DWORD
	v_fma_f16 v1, v24, v5, v1
	v_mul_f16_sdwa v5, v24, v5 dst_sel:DWORD dst_unused:UNUSED_PAD src0_sel:WORD_1 src1_sel:DWORD
	v_fma_f16 v0, v24, v0, -v5
	v_pack_b32_f16 v0, v1, v0
	s_waitcnt vmcnt(7)
	v_lshrrev_b32_e32 v1, 16, v6
	v_mul_f16_sdwa v5, v25, v1 dst_sel:DWORD dst_unused:UNUSED_PAD src0_sel:WORD_1 src1_sel:DWORD
	v_fma_f16 v5, v25, v6, v5
	v_mul_f16_sdwa v6, v25, v6 dst_sel:DWORD dst_unused:UNUSED_PAD src0_sel:WORD_1 src1_sel:DWORD
	v_fma_f16 v1, v25, v1, -v6
	v_pack_b32_f16 v1, v5, v1
	ds_write2_b32 v9, v0, v1 offset0:60 offset1:72
	s_waitcnt vmcnt(6)
	v_lshrrev_b32_e32 v0, 16, v8
	v_mul_f16_sdwa v1, v26, v0 dst_sel:DWORD dst_unused:UNUSED_PAD src0_sel:WORD_1 src1_sel:DWORD
	v_mul_f16_sdwa v5, v26, v8 dst_sel:DWORD dst_unused:UNUSED_PAD src0_sel:WORD_1 src1_sel:DWORD
	v_fma_f16 v1, v26, v8, v1
	v_fma_f16 v0, v26, v0, -v5
	v_pack_b32_f16 v0, v1, v0
	s_waitcnt vmcnt(5)
	v_lshrrev_b32_e32 v1, 16, v10
	s_waitcnt vmcnt(4)
	v_mul_f16_sdwa v5, v11, v1 dst_sel:DWORD dst_unused:UNUSED_PAD src0_sel:WORD_1 src1_sel:DWORD
	v_mul_f16_sdwa v6, v11, v10 dst_sel:DWORD dst_unused:UNUSED_PAD src0_sel:WORD_1 src1_sel:DWORD
	v_fma_f16 v5, v11, v10, v5
	v_fma_f16 v1, v11, v1, -v6
	v_pack_b32_f16 v1, v5, v1
	ds_write2_b32 v9, v0, v1 offset0:84 offset1:96
	s_waitcnt vmcnt(3)
	v_lshrrev_b32_e32 v0, 16, v3
	s_waitcnt vmcnt(2)
	v_mul_f16_sdwa v1, v14, v0 dst_sel:DWORD dst_unused:UNUSED_PAD src0_sel:WORD_1 src1_sel:DWORD
	v_fma_f16 v1, v14, v3, v1
	v_mul_f16_sdwa v3, v14, v3 dst_sel:DWORD dst_unused:UNUSED_PAD src0_sel:WORD_1 src1_sel:DWORD
	v_fma_f16 v0, v14, v0, -v3
	v_pack_b32_f16 v0, v1, v0
	s_waitcnt vmcnt(1)
	v_lshrrev_b32_e32 v1, 16, v2
	s_waitcnt vmcnt(0)
	v_mul_f16_sdwa v3, v29, v1 dst_sel:DWORD dst_unused:UNUSED_PAD src0_sel:WORD_1 src1_sel:DWORD
	v_fma_f16 v3, v29, v2, v3
	v_mul_f16_sdwa v2, v29, v2 dst_sel:DWORD dst_unused:UNUSED_PAD src0_sel:WORD_1 src1_sel:DWORD
	v_fma_f16 v1, v29, v1, -v2
	v_pack_b32_f16 v1, v3, v1
	ds_write2_b32 v9, v0, v1 offset0:108 offset1:120
.LBB0_3:
	s_or_b64 exec, exec, s[14:15]
	s_load_dwordx2 s[0:1], s[4:5], 0x20
	s_load_dwordx2 s[2:3], s[4:5], 0x8
	v_mov_b32_e32 v0, 0
	s_waitcnt lgkmcnt(0)
	s_barrier
	s_waitcnt lgkmcnt(0)
                                        ; implicit-def: $vgpr21
                                        ; implicit-def: $vgpr3
                                        ; implicit-def: $vgpr10
                                        ; implicit-def: $vgpr12
                                        ; implicit-def: $vgpr14
	s_and_saveexec_b64 s[4:5], vcc
	s_cbranch_execz .LBB0_5
; %bb.4:
	v_lshl_add_u32 v5, v18, 2, v16
	ds_read2_b32 v[0:1], v5 offset1:12
	ds_read2_b32 v[13:14], v5 offset0:24 offset1:36
	ds_read2_b32 v[11:12], v5 offset0:48 offset1:60
	;; [unrolled: 1-line block ×4, first 2 shown]
	ds_read_b32 v21, v5 offset:480
.LBB0_5:
	s_or_b64 exec, exec, s[4:5]
	s_waitcnt lgkmcnt(0)
	v_pk_add_f16 v7, v1, v21 neg_lo:[0,1] neg_hi:[0,1]
	s_mov_b32 s9, 0xba0c
	v_pk_add_f16 v31, v21, v1
	s_mov_b32 s8, 0xb93d
	v_mul_f16_sdwa v22, v7, s9 dst_sel:DWORD dst_unused:UNUSED_PAD src0_sel:WORD_1 src1_sel:DWORD
	s_mov_b32 s14, 0xb482
	v_pk_add_f16 v8, v13, v3 neg_lo:[0,1] neg_hi:[0,1]
	s_movk_i32 s15, 0x3beb
	s_mov_b32 s5, 0xb08e
	v_fma_f16 v5, v31, s8, v22
	s_mov_b32 s11, 0xbbad
	v_mul_f16_sdwa v29, v7, s14 dst_sel:DWORD dst_unused:UNUSED_PAD src0_sel:WORD_1 src1_sel:DWORD
	v_pk_add_f16 v34, v3, v13
	v_mul_f16_sdwa v30, v8, s15 dst_sel:DWORD dst_unused:UNUSED_PAD src0_sel:WORD_1 src1_sel:DWORD
	s_movk_i32 s15, 0x3853
	s_movk_i32 s4, 0x3abb
	v_add_f16_e32 v5, v5, v0
	v_fma_f16 v6, v31, s11, v29
	v_fma_f16 v20, v34, s5, v30
	v_mul_f16_sdwa v32, v8, s15 dst_sel:DWORD dst_unused:UNUSED_PAD src0_sel:WORD_1 src1_sel:DWORD
	v_add_f16_e32 v6, v6, v0
	v_add_f16_e32 v5, v20, v5
	v_fma_f16 v20, v34, s4, v32
	s_mov_b32 s10, 0xb853
	v_add_f16_e32 v6, v20, v6
	v_pk_add_f16 v20, v14, v2 neg_lo:[0,1] neg_hi:[0,1]
	v_pk_add_f16 v37, v2, v14
	v_mul_f16_sdwa v33, v20, s10 dst_sel:DWORD dst_unused:UNUSED_PAD src0_sel:WORD_1 src1_sel:DWORD
	v_fma_f16 v23, v37, s4, v33
	v_mul_f16_sdwa v35, v20, s9 dst_sel:DWORD dst_unused:UNUSED_PAD src0_sel:WORD_1 src1_sel:DWORD
	v_add_f16_e32 v5, v23, v5
	v_fma_f16 v23, v37, s8, v35
	v_add_f16_e32 v6, v23, v6
	v_pk_add_f16 v23, v11, v10 neg_lo:[0,1] neg_hi:[0,1]
	v_pk_add_f16 v40, v10, v11
	v_mul_f16_sdwa v36, v23, s14 dst_sel:DWORD dst_unused:UNUSED_PAD src0_sel:WORD_1 src1_sel:DWORD
	s_movk_i32 s16, 0x3b47
	v_fma_f16 v24, v40, s11, v36
	s_movk_i32 s15, 0x36a6
	v_mul_f16_sdwa v41, v23, s16 dst_sel:DWORD dst_unused:UNUSED_PAD src0_sel:WORD_1 src1_sel:DWORD
	v_pk_add_f16 v27, v12, v9 neg_lo:[0,1] neg_hi:[0,1]
	v_add_f16_e32 v5, v24, v5
	v_fma_f16 v24, v40, s15, v41
	s_mov_b32 s17, 0xbbeb
	v_pk_add_f16 v45, v9, v12
	v_mul_f16_sdwa v44, v27, s16 dst_sel:DWORD dst_unused:UNUSED_PAD src0_sel:WORD_1 src1_sel:DWORD
	v_add_f16_e32 v24, v24, v6
	v_fma_f16 v6, v45, s15, v44
	v_mul_f16_sdwa v53, v27, s17 dst_sel:DWORD dst_unused:UNUSED_PAD src0_sel:WORD_1 src1_sel:DWORD
	v_add_f16_e32 v6, v6, v5
	v_fma_f16 v5, v45, s5, v53
	v_mul_f16_sdwa v38, v7, s10 dst_sel:DWORD dst_unused:UNUSED_PAD src0_sel:WORD_1 src1_sel:DWORD
	s_mov_b32 s18, 0xbb47
	v_add_f16_e32 v5, v5, v24
	v_fma_f16 v24, v31, s4, v38
	v_mul_f16_sdwa v39, v8, s18 dst_sel:DWORD dst_unused:UNUSED_PAD src0_sel:WORD_1 src1_sel:DWORD
	v_add_f16_e32 v24, v24, v0
	v_fma_f16 v25, v34, s15, v39
	v_lshrrev_b32_e32 v74, 16, v31
	v_mul_f16_e32 v42, 0xbb47, v7
	v_add_f16_e32 v24, v25, v24
	v_fma_f16 v25, v74, s15, -v42
	v_lshrrev_b32_e32 v70, 16, v34
	v_mul_f16_e32 v43, 0xba0c, v8
	v_add_f16_sdwa v25, v25, v0 dst_sel:DWORD dst_unused:UNUSED_PAD src0_sel:DWORD src1_sel:WORD_1
	v_fma_f16 v26, v70, s8, -v43
	v_mul_f16_sdwa v46, v7, s17 dst_sel:DWORD dst_unused:UNUSED_PAD src0_sel:WORD_1 src1_sel:DWORD
	s_movk_i32 s18, 0x3482
	v_add_f16_e32 v25, v26, v25
	v_fma_f16 v26, v31, s5, v46
	v_mul_f16_sdwa v49, v8, s18 dst_sel:DWORD dst_unused:UNUSED_PAD src0_sel:WORD_1 src1_sel:DWORD
	v_add_f16_e32 v26, v26, v0
	v_fma_f16 v28, v34, s11, v49
	v_mul_f16_e32 v54, 0xbbeb, v7
	v_add_f16_e32 v26, v28, v26
	v_fma_f16 v28, v74, s5, -v54
	v_mul_f16_e32 v55, 0x3482, v8
	v_add_f16_sdwa v28, v28, v0 dst_sel:DWORD dst_unused:UNUSED_PAD src0_sel:DWORD src1_sel:WORD_1
	v_fma_f16 v47, v70, s11, -v55
	v_mul_f16_e32 v61, 0xba0c, v7
	v_add_f16_e32 v28, v47, v28
	v_fma_f16 v47, v74, s8, -v61
	v_mul_f16_e32 v62, 0x3beb, v8
	v_add_f16_sdwa v47, v47, v0 dst_sel:DWORD dst_unused:UNUSED_PAD src0_sel:DWORD src1_sel:WORD_1
	v_fma_f16 v48, v70, s5, -v62
	s_mov_b32 s18, 0x3abb36a6
	v_add_f16_e32 v57, v48, v47
	s_mov_b32 s19, 0xbb47b853
	v_pk_mul_f16 v48, v31, s18
	v_mul_f16_e32 v72, 0xb482, v7
	s_mov_b32 s18, 0x36a6b93d
	v_pk_fma_f16 v47, v7, s19, v48 op_sel:[0,0,1] op_sel_hi:[1,1,0] neg_lo:[1,0,0] neg_hi:[1,0,0]
	v_pk_fma_f16 v48, v7, s19, v48 op_sel:[0,0,1] op_sel_hi:[1,1,0]
	v_fma_f16 v7, v74, s11, -v72
	s_mov_b32 s19, 0xba0cbb47
	v_pk_mul_f16 v50, v34, s18
	v_mul_f16_e32 v75, 0x3853, v8
	v_add_f16_sdwa v7, v7, v0 dst_sel:DWORD dst_unused:UNUSED_PAD src0_sel:DWORD src1_sel:WORD_1
	v_pk_fma_f16 v51, v8, s19, v50 op_sel:[0,0,1] op_sel_hi:[1,1,0] neg_lo:[1,0,0] neg_hi:[1,0,0]
	v_pk_fma_f16 v52, v8, s19, v50 op_sel:[0,0,1] op_sel_hi:[1,1,0]
	v_fma_f16 v8, v70, s4, -v75
	v_mul_f16_sdwa v50, v20, s17 dst_sel:DWORD dst_unused:UNUSED_PAD src0_sel:WORD_1 src1_sel:DWORD
	v_add_f16_e32 v7, v8, v7
	v_fma_f16 v8, v37, s5, v50
	v_lshrrev_b32_e32 v82, 16, v37
	v_mul_f16_e32 v56, 0x3482, v20
	v_add_f16_e32 v8, v8, v24
	v_fma_f16 v24, v82, s11, -v56
	v_mul_f16_sdwa v60, v20, s16 dst_sel:DWORD dst_unused:UNUSED_PAD src0_sel:WORD_1 src1_sel:DWORD
	v_add_f16_e32 v24, v24, v25
	v_fma_f16 v25, v37, s15, v60
	v_mul_f16_e32 v65, 0x3b47, v20
	v_add_f16_e32 v25, v25, v26
	v_fma_f16 v26, v82, s15, -v65
	v_mul_f16_e32 v73, 0xb853, v20
	v_add_f16_e32 v26, v26, v28
	v_fma_f16 v28, v82, s4, -v73
	s_mov_b32 s16, 0xb08ebbad
	v_add_f16_e32 v28, v28, v57
	s_mov_b32 s17, 0x3482bbeb
	v_pk_mul_f16 v57, v37, s16
	v_mul_f16_e32 v80, 0xba0c, v20
	v_pk_fma_f16 v58, v20, s17, v57 op_sel:[0,0,1] op_sel_hi:[1,1,0] neg_lo:[1,0,0] neg_hi:[1,0,0]
	v_pk_fma_f16 v59, v20, s17, v57 op_sel:[0,0,1] op_sel_hi:[1,1,0]
	v_fma_f16 v20, v82, s8, -v80
	v_mul_f16_sdwa v57, v23, s9 dst_sel:DWORD dst_unused:UNUSED_PAD src0_sel:WORD_1 src1_sel:DWORD
	v_add_f16_e32 v7, v20, v7
	v_fma_f16 v20, v40, s8, v57
	v_lshrrev_b32_e32 v83, 16, v40
	v_mul_f16_e32 v63, 0x3beb, v23
	v_add_f16_e32 v8, v20, v8
	v_fma_f16 v20, v83, s5, -v63
	v_mul_f16_sdwa v68, v23, s10 dst_sel:DWORD dst_unused:UNUSED_PAD src0_sel:WORD_1 src1_sel:DWORD
	v_add_f16_e32 v20, v20, v24
	v_fma_f16 v24, v40, s4, v68
	v_mul_f16_e32 v71, 0xb853, v23
	v_add_f16_e32 v24, v24, v25
	v_fma_f16 v25, v83, s4, -v71
	v_mul_f16_e32 v79, 0xb482, v23
	v_add_f16_e32 v25, v25, v26
	v_fma_f16 v26, v83, s11, -v79
	s_mov_b32 s10, 0xb93db08e
	v_add_f16_e32 v26, v26, v28
	s_mov_b32 s16, 0x3bebba0c
	v_pk_mul_f16 v28, v40, s10
	v_mul_f16_e32 v84, 0x3b47, v23
	v_pk_fma_f16 v66, v23, s16, v28 op_sel:[0,0,1] op_sel_hi:[1,1,0] neg_lo:[1,0,0] neg_hi:[1,0,0]
	v_pk_fma_f16 v67, v23, s16, v28 op_sel:[0,0,1] op_sel_hi:[1,1,0]
	v_fma_f16 v23, v83, s15, -v84
	v_mul_f16_sdwa v64, v27, s14 dst_sel:DWORD dst_unused:UNUSED_PAD src0_sel:WORD_1 src1_sel:DWORD
	v_add_f16_e32 v28, v23, v7
	v_fma_f16 v7, v45, s11, v64
	v_add_f16_e32 v23, v7, v8
	v_add_f16_sdwa v7, v48, v0 dst_sel:DWORD dst_unused:UNUSED_PAD src0_sel:WORD_1 src1_sel:DWORD
	v_add_f16_sdwa v7, v52, v7 dst_sel:DWORD dst_unused:UNUSED_PAD src0_sel:WORD_1 src1_sel:DWORD
	;; [unrolled: 1-line block ×3, first 2 shown]
	v_mul_f16_sdwa v78, v27, s9 dst_sel:DWORD dst_unused:UNUSED_PAD src0_sel:WORD_1 src1_sel:DWORD
	v_add_f16_sdwa v8, v67, v7 dst_sel:DWORD dst_unused:UNUSED_PAD src0_sel:WORD_1 src1_sel:DWORD
	v_fma_f16 v7, v45, s8, v78
	v_lshrrev_b32_e32 v86, 16, v45
	v_mul_f16_e32 v76, 0x3853, v27
	v_add_f16_e32 v7, v7, v24
	v_fma_f16 v24, v86, s4, -v76
	v_mul_f16_e32 v81, 0xba0c, v27
	v_add_f16_e32 v24, v24, v20
	v_fma_f16 v20, v86, s8, -v81
	v_mul_f16_e32 v85, 0x3b47, v27
	s_mov_b32 s10, 0xbbad3abb
	v_add_f16_e32 v25, v20, v25
	v_fma_f16 v20, v86, s15, -v85
	v_mul_f16_e32 v87, 0xbbeb, v27
	s_mov_b32 s11, 0x3853b482
	v_pk_mul_f16 v77, v45, s10
	v_add_f16_e32 v26, v20, v26
	v_fma_f16 v20, v86, s5, -v87
	v_pk_fma_f16 v69, v27, s11, v77 op_sel:[0,0,1] op_sel_hi:[1,1,0]
	v_pk_fma_f16 v77, v27, s11, v77 op_sel:[0,0,1] op_sel_hi:[1,1,0] neg_lo:[1,0,0] neg_hi:[1,0,0]
	v_add_f16_e32 v27, v20, v28
	v_add_f16_sdwa v20, v47, v0 dst_sel:DWORD dst_unused:UNUSED_PAD src0_sel:DWORD src1_sel:WORD_1
	v_add_f16_e32 v20, v51, v20
	v_add_f16_e32 v20, v58, v20
	;; [unrolled: 1-line block ×3, first 2 shown]
	v_add_f16_sdwa v8, v69, v8 dst_sel:DWORD dst_unused:UNUSED_PAD src0_sel:WORD_1 src1_sel:DWORD
	v_add_f16_e32 v28, v77, v20
	v_mul_lo_u16_e32 v20, 11, v15
	s_barrier
	s_and_saveexec_b64 s[4:5], vcc
	s_cbranch_execz .LBB0_7
; %bb.6:
	v_mul_f16_e32 v88, 0x3abb, v31
	v_mul_f16_e32 v90, 0xb08e, v31
	;; [unrolled: 1-line block ×8, first 2 shown]
	v_sub_f16_e32 v29, v31, v29
	v_mul_f16_e32 v100, 0xb08e, v37
	v_mul_f16_e32 v102, 0x36a6, v37
	v_mul_f16_e32 v104, 0x3abb, v37
	v_mul_f16_e32 v37, 0xb93d, v37
	v_add_f16_e32 v29, v29, v0
	v_sub_f16_e32 v31, v34, v32
	v_mul_f16_e32 v106, 0xb93d, v40
	v_mul_f16_e32 v108, 0x3abb, v40
	v_mul_f16_e32 v110, 0xbbad, v40
	v_mul_f16_e32 v40, 0x36a6, v40
	v_add_f16_e32 v29, v31, v29
	;; [unrolled: 6-line block ×3, first 2 shown]
	v_sub_f16_e32 v31, v40, v41
	v_mul_f16_e32 v93, 0xb93d, v74
	v_add_f16_e32 v29, v31, v29
	v_sub_f16_e32 v31, v45, v53
	v_sub_f16_e32 v22, v92, v22
	v_mul_f16_e32 v99, 0xb08e, v70
	v_add_f16_e32 v29, v31, v29
	v_add_f16_e32 v31, v61, v93
	;; [unrolled: 1-line block ×3, first 2 shown]
	v_sub_f16_e32 v30, v98, v30
	v_mul_f16_e32 v105, 0x3abb, v82
	v_add_f16_sdwa v31, v31, v0 dst_sel:DWORD dst_unused:UNUSED_PAD src0_sel:DWORD src1_sel:WORD_1
	v_add_f16_e32 v32, v62, v99
	v_add_f16_e32 v22, v30, v22
	v_sub_f16_e32 v30, v104, v33
	v_mul_f16_e32 v111, 0xbbad, v83
	v_add_f16_e32 v31, v32, v31
	v_add_f16_e32 v32, v73, v105
	;; [unrolled: 1-line block ×3, first 2 shown]
	v_sub_f16_e32 v30, v110, v36
	v_mul_f16_e32 v91, 0xb08e, v74
	v_mul_f16_e32 v117, 0x36a6, v86
	v_add_f16_e32 v31, v32, v31
	v_add_f16_e32 v32, v79, v111
	;; [unrolled: 1-line block ×3, first 2 shown]
	v_sub_f16_e32 v30, v116, v44
	v_mul_f16_e32 v97, 0xbbad, v70
	v_add_f16_e32 v31, v32, v31
	v_add_f16_e32 v32, v85, v117
	;; [unrolled: 1-line block ×4, first 2 shown]
	v_mul_f16_e32 v103, 0x36a6, v82
	v_add_f16_e32 v31, v32, v31
	v_add_f16_sdwa v30, v30, v0 dst_sel:DWORD dst_unused:UNUSED_PAD src0_sel:DWORD src1_sel:WORD_1
	v_add_f16_e32 v32, v55, v97
	v_mul_f16_e32 v109, 0x3abb, v83
	v_add_f16_e32 v30, v32, v30
	v_add_f16_e32 v32, v65, v103
	v_mul_f16_e32 v115, 0xb93d, v86
	v_add_f16_e32 v30, v32, v30
	v_add_f16_e32 v32, v71, v109
	;; [unrolled: 1-line block ×5, first 2 shown]
	v_sub_f16_e32 v32, v90, v46
	v_add_f16_e32 v32, v32, v0
	v_sub_f16_e32 v33, v96, v49
	v_add_f16_e32 v32, v33, v32
	v_sub_f16_e32 v33, v102, v60
	v_add_f16_e32 v32, v33, v32
	v_sub_f16_e32 v33, v108, v68
	v_mul_f16_e32 v89, 0x36a6, v74
	v_add_f16_e32 v32, v33, v32
	v_sub_f16_e32 v33, v114, v78
	v_mul_f16_e32 v95, 0xb93d, v70
	v_add_f16_e32 v32, v33, v32
	v_add_f16_e32 v33, v42, v89
	v_mul_f16_e32 v101, 0xbbad, v82
	v_add_f16_sdwa v33, v33, v0 dst_sel:DWORD dst_unused:UNUSED_PAD src0_sel:DWORD src1_sel:WORD_1
	v_add_f16_e32 v34, v43, v95
	v_pk_add_f16 v1, v1, v0
	v_mul_f16_e32 v107, 0xb08e, v83
	v_add_f16_e32 v33, v34, v33
	v_add_f16_e32 v34, v56, v101
	v_pk_add_f16 v1, v13, v1
	v_mul_f16_e32 v113, 0x3abb, v86
	v_add_f16_e32 v33, v34, v33
	;; [unrolled: 4-line block ×3, first 2 shown]
	v_add_f16_e32 v34, v76, v113
	s_mov_b32 s8, 0xffff
	v_pk_add_f16 v1, v11, v1
	v_add_f16_e32 v72, v72, v74
	v_add_f16_e32 v33, v34, v33
	v_bfi_b32 v34, s8, v48, v47
	v_sub_f16_e32 v38, v88, v38
	v_pk_add_f16 v1, v12, v1
	v_add_f16_sdwa v72, v72, v0 dst_sel:DWORD dst_unused:UNUSED_PAD src0_sel:DWORD src1_sel:WORD_1
	v_bfi_b32 v35, s8, v52, v51
	v_add_f16_e32 v38, v38, v0
	v_sub_f16_e32 v39, v94, v39
	v_pk_add_f16 v1, v9, v1
	v_pk_add_f16 v0, v34, v0 op_sel:[0,1] op_sel_hi:[1,0]
	v_mul_f16_e32 v70, 0x3abb, v70
	v_bfi_b32 v36, s8, v59, v58
	v_add_f16_e32 v38, v39, v38
	v_sub_f16_e32 v39, v100, v50
	v_pk_add_f16 v1, v10, v1
	v_pk_add_f16 v0, v35, v0
	v_mul_f16_e32 v82, 0xb93d, v82
	v_add_f16_e32 v70, v75, v70
	v_bfi_b32 v37, s8, v67, v66
	v_add_f16_e32 v38, v39, v38
	v_sub_f16_e32 v39, v106, v57
	v_pk_add_f16 v1, v2, v1
	v_pk_add_f16 v0, v36, v0
	v_mul_f16_e32 v83, 0x36a6, v83
	v_add_f16_e32 v70, v70, v72
	v_add_f16_e32 v72, v80, v82
	v_bfi_b32 v40, s8, v69, v77
	v_add_f16_e32 v38, v39, v38
	v_sub_f16_e32 v39, v112, v64
	v_pk_add_f16 v1, v3, v1
	v_pk_add_f16 v0, v37, v0
	v_mul_f16_e32 v86, 0xb08e, v86
	v_add_f16_e32 v70, v72, v70
	v_add_f16_e32 v72, v84, v83
	;; [unrolled: 1-line block ×3, first 2 shown]
	v_add_lshl_u32 v39, v18, v20, 2
	v_pk_add_f16 v1, v21, v1
	v_pk_add_f16 v0, v40, v0
	v_add_f16_e32 v70, v72, v70
	v_add_f16_e32 v72, v87, v86
	ds_write_b32 v39, v1
	v_alignbit_b32 v1, v33, v0, 16
	v_pack_b32_f16 v0, v38, v0
	v_add_f16_e32 v70, v72, v70
	ds_write2_b32 v39, v0, v1 offset0:1 offset1:2
	v_pack_b32_f16 v0, v22, v31
	v_pack_b32_f16 v1, v32, v30
	s_mov_b32 s8, 0x5040100
	ds_write2_b32 v39, v1, v0 offset0:3 offset1:4
	v_pack_b32_f16 v0, v29, v70
	v_perm_b32 v1, v27, v5, s8
	ds_write2_b32 v39, v0, v1 offset0:5 offset1:6
	v_perm_b32 v0, v25, v7, s8
	v_perm_b32 v1, v26, v6, s8
	ds_write2_b32 v39, v1, v0 offset0:7 offset1:8
	v_perm_b32 v0, v28, v23, s8
	v_perm_b32 v1, v24, v8, s8
	ds_write2_b32 v39, v1, v0 offset0:9 offset1:10
.LBB0_7:
	s_or_b64 exec, exec, s[4:5]
	s_load_dwordx4 s[8:11], s[0:1], 0x0
	v_add_u32_e32 v0, -11, v15
	v_cmp_gt_u16_e64 s[0:1], 11, v15
	v_cndmask_b32_e64 v22, v0, v15, s[0:1]
	v_mul_i32_i24_e32 v1, 20, v22
	v_mul_hi_i32_i24_e32 v0, 20, v22
	v_mov_b32_e32 v2, s3
	v_add_co_u32_e64 v9, s[0:1], s2, v1
	v_addc_co_u32_e64 v10, s[0:1], v2, v0, s[0:1]
	s_waitcnt lgkmcnt(0)
	s_barrier
	global_load_dwordx4 v[0:3], v[9:10], off
	global_load_dword v29, v[9:10], off offset:16
	v_add_lshl_u32 v21, v18, v15, 2
	ds_read2_b32 v[9:10], v21 offset1:22
	ds_read2_b32 v[11:12], v21 offset0:44 offset1:66
	ds_read2_b32 v[13:14], v21 offset0:88 offset1:110
	s_movk_i32 s0, 0x3aee
	s_mov_b32 s1, 0xbaee
	s_waitcnt lgkmcnt(2)
	v_lshrrev_b32_e32 v31, 16, v10
	s_waitcnt lgkmcnt(1)
	v_lshrrev_b32_e32 v32, 16, v11
	v_lshrrev_b32_e32 v33, 16, v12
	s_waitcnt lgkmcnt(0)
	v_lshrrev_b32_e32 v34, 16, v13
	v_lshrrev_b32_e32 v35, 16, v14
	;; [unrolled: 1-line block ×3, first 2 shown]
	s_waitcnt vmcnt(0)
	s_barrier
	v_mul_f16_sdwa v37, v10, v0 dst_sel:DWORD dst_unused:UNUSED_PAD src0_sel:DWORD src1_sel:WORD_1
	v_mul_f16_sdwa v41, v12, v2 dst_sel:DWORD dst_unused:UNUSED_PAD src0_sel:DWORD src1_sel:WORD_1
	;; [unrolled: 1-line block ×10, first 2 shown]
	v_fma_f16 v31, v31, v0, v37
	v_fma_f16 v33, v33, v2, v41
	v_fma_f16 v35, v35, v29, v45
	v_fma_f16 v10, v10, v0, -v36
	v_fma_f16 v11, v11, v1, -v38
	v_fma_f16 v32, v32, v1, v39
	v_fma_f16 v12, v12, v2, -v40
	v_fma_f16 v13, v13, v3, -v42
	v_fma_f16 v34, v34, v3, v43
	v_fma_f16 v14, v14, v29, -v44
	v_sub_f16_e32 v42, v33, v35
	v_add_f16_e32 v43, v31, v33
	v_add_f16_e32 v33, v33, v35
	;; [unrolled: 1-line block ×3, first 2 shown]
	v_sub_f16_e32 v38, v32, v34
	v_add_f16_e32 v39, v30, v32
	v_add_f16_e32 v32, v32, v34
	;; [unrolled: 1-line block ×4, first 2 shown]
	v_sub_f16_e32 v12, v12, v14
	v_fma_f16 v31, v33, -0.5, v31
	v_add_f16_e32 v37, v11, v13
	v_sub_f16_e32 v11, v11, v13
	v_add_f16_e32 v13, v36, v13
	v_fma_f16 v30, v32, -0.5, v30
	v_fma_f16 v10, v41, -0.5, v10
	v_fma_f16 v36, v12, s1, v31
	v_fma_f16 v12, v12, s0, v31
	v_fma_f16 v9, v37, -0.5, v9
	v_add_f16_e32 v14, v40, v14
	v_add_f16_e32 v32, v43, v35
	v_fma_f16 v35, v11, s1, v30
	v_fma_f16 v11, v11, s0, v30
	;; [unrolled: 1-line block ×4, first 2 shown]
	v_mul_f16_e32 v40, -0.5, v12
	v_fma_f16 v33, v38, s0, v9
	v_fma_f16 v9, v38, s1, v9
	v_mul_f16_e32 v38, -0.5, v10
	v_fma_f16 v10, v10, s1, v40
	v_add_f16_e32 v34, v39, v34
	v_add_f16_e32 v31, v13, v14
	v_sub_f16_e32 v13, v13, v14
	v_mul_f16_e32 v14, 0x3aee, v36
	v_mul_f16_e32 v39, 0xbaee, v30
	v_fma_f16 v12, v12, s0, v38
	v_add_f16_e32 v40, v11, v10
	v_sub_f16_e32 v10, v11, v10
	v_mov_b32_e32 v11, 0x42
	v_cmp_lt_u16_e64 s[0:1], 10, v15
	v_fma_f16 v14, v30, 0.5, v14
	v_fma_f16 v30, v36, 0.5, v39
	v_cndmask_b32_e64 v11, 0, v11, s[0:1]
	v_add_f16_e32 v37, v34, v32
	v_add_f16_e32 v36, v33, v14
	;; [unrolled: 1-line block ×3, first 2 shown]
	v_add_u32_e32 v11, v22, v11
	v_add_f16_e32 v38, v9, v12
	v_sub_f16_e32 v9, v9, v12
	v_sub_f16_e32 v12, v34, v32
	;; [unrolled: 1-line block ×3, first 2 shown]
	v_add_lshl_u32 v30, v18, v11, 2
	v_pack_b32_f16 v11, v31, v37
	v_pack_b32_f16 v22, v36, v39
	v_sub_f16_e32 v14, v33, v14
	ds_write2_b32 v30, v11, v22 offset1:11
	v_pack_b32_f16 v11, v38, v40
	v_pack_b32_f16 v12, v13, v12
	ds_write2_b32 v30, v11, v12 offset0:22 offset1:33
	v_pack_b32_f16 v11, v14, v32
	v_pack_b32_f16 v9, v9, v10
	ds_write2_b32 v30, v11, v9 offset0:44 offset1:55
	s_waitcnt lgkmcnt(0)
	s_barrier
	global_load_dword v31, v16, s[2:3] offset:220
	global_load_dword v32, v16, s[2:3] offset:308
	;; [unrolled: 1-line block ×3, first 2 shown]
	ds_read2_b32 v[37:38], v21 offset1:22
	ds_read2_b32 v[13:14], v21 offset0:44 offset1:66
	ds_read2_b32 v[9:10], v21 offset0:88 offset1:110
	v_lshl_add_u32 v22, v15, 2, v19
	v_add_u32_e32 v40, v16, v19
	s_waitcnt lgkmcnt(2)
	v_lshrrev_b32_e32 v11, 16, v37
	s_waitcnt lgkmcnt(1)
	v_lshrrev_b32_e32 v12, 16, v14
	;; [unrolled: 2-line block ×3, first 2 shown]
	v_lshrrev_b32_e32 v35, 16, v10
	v_lshrrev_b32_e32 v41, 16, v38
	;; [unrolled: 1-line block ×3, first 2 shown]
	s_waitcnt vmcnt(2)
	v_mul_f16_sdwa v36, v12, v31 dst_sel:DWORD dst_unused:UNUSED_PAD src0_sel:DWORD src1_sel:WORD_1
	v_mul_f16_sdwa v39, v14, v31 dst_sel:DWORD dst_unused:UNUSED_PAD src0_sel:DWORD src1_sel:WORD_1
	s_waitcnt vmcnt(1)
	v_mul_f16_sdwa v43, v34, v32 dst_sel:DWORD dst_unused:UNUSED_PAD src0_sel:DWORD src1_sel:WORD_1
	v_mul_f16_sdwa v44, v9, v32 dst_sel:DWORD dst_unused:UNUSED_PAD src0_sel:DWORD src1_sel:WORD_1
	;; [unrolled: 3-line block ×3, first 2 shown]
	v_fma_f16 v14, v14, v31, -v36
	v_fma_f16 v12, v12, v31, v39
	v_fma_f16 v9, v9, v32, -v43
	v_fma_f16 v34, v34, v32, v44
	;; [unrolled: 2-line block ×3, first 2 shown]
	v_sub_f16_e32 v10, v37, v14
	v_sub_f16_e32 v35, v11, v12
	;; [unrolled: 1-line block ×6, first 2 shown]
	v_fma_f16 v9, v37, 2.0, -v10
	v_fma_f16 v34, v11, 2.0, -v35
	;; [unrolled: 1-line block ×6, first 2 shown]
	v_pack_b32_f16 v42, v12, v36
	v_pack_b32_f16 v44, v9, v34
	;; [unrolled: 1-line block ×5, first 2 shown]
	ds_write_b32 v22, v42 offset:352
	v_pack_b32_f16 v42, v13, v38
	ds_write2_b32 v22, v44, v45 offset1:22
	ds_write2_b32 v22, v42, v41 offset0:44 offset1:66
	ds_write_b32 v40, v43 offset:440
	s_waitcnt lgkmcnt(0)
	s_barrier
	s_and_saveexec_b64 s[0:1], vcc
	s_cbranch_execz .LBB0_9
; %bb.8:
	global_load_dword v51, v16, s[6:7] offset:528
	s_add_u32 s2, s6, 0x210
	s_addc_u32 s3, s7, 0
	global_load_dword v52, v16, s[2:3] offset:48
	global_load_dword v53, v16, s[2:3] offset:96
	;; [unrolled: 1-line block ×10, first 2 shown]
	ds_read2_b32 v[41:42], v22 offset1:12
	ds_read2_b32 v[43:44], v22 offset0:24 offset1:36
	ds_read2_b32 v[45:46], v22 offset0:48 offset1:60
	;; [unrolled: 1-line block ×4, first 2 shown]
	ds_read_b32 v62, v22 offset:480
	s_waitcnt lgkmcnt(5)
	v_lshrrev_b32_e32 v63, 16, v41
	v_lshrrev_b32_e32 v64, 16, v42
	s_waitcnt lgkmcnt(4)
	v_lshrrev_b32_e32 v65, 16, v43
	v_lshrrev_b32_e32 v66, 16, v44
	s_waitcnt lgkmcnt(3)
	v_lshrrev_b32_e32 v67, 16, v45
	v_lshrrev_b32_e32 v68, 16, v46
	s_waitcnt lgkmcnt(2)
	v_lshrrev_b32_e32 v69, 16, v47
	v_lshrrev_b32_e32 v70, 16, v48
	s_waitcnt lgkmcnt(1)
	v_lshrrev_b32_e32 v71, 16, v49
	v_lshrrev_b32_e32 v72, 16, v50
	s_waitcnt lgkmcnt(0)
	v_lshrrev_b32_e32 v73, 16, v62
	s_waitcnt vmcnt(7)
	v_mul_f16_sdwa v76, v66, v54 dst_sel:DWORD dst_unused:UNUSED_PAD src0_sel:DWORD src1_sel:WORD_1
	v_mul_f16_sdwa v77, v44, v54 dst_sel:DWORD dst_unused:UNUSED_PAD src0_sel:DWORD src1_sel:WORD_1
	s_waitcnt vmcnt(6)
	v_mul_f16_sdwa v78, v67, v55 dst_sel:DWORD dst_unused:UNUSED_PAD src0_sel:DWORD src1_sel:WORD_1
	v_mul_f16_sdwa v79, v45, v55 dst_sel:DWORD dst_unused:UNUSED_PAD src0_sel:DWORD src1_sel:WORD_1
	;; [unrolled: 1-line block ×4, first 2 shown]
	v_fma_f16 v41, v41, v51, -v74
	v_fma_f16 v51, v63, v51, v75
	v_pack_b32_f16 v41, v41, v51
	v_mul_f16_sdwa v51, v64, v52 dst_sel:DWORD dst_unused:UNUSED_PAD src0_sel:DWORD src1_sel:WORD_1
	v_mul_f16_sdwa v63, v42, v52 dst_sel:DWORD dst_unused:UNUSED_PAD src0_sel:DWORD src1_sel:WORD_1
	;; [unrolled: 1-line block ×4, first 2 shown]
	s_waitcnt vmcnt(5)
	v_mul_f16_sdwa v80, v68, v56 dst_sel:DWORD dst_unused:UNUSED_PAD src0_sel:DWORD src1_sel:WORD_1
	v_mul_f16_sdwa v81, v46, v56 dst_sel:DWORD dst_unused:UNUSED_PAD src0_sel:DWORD src1_sel:WORD_1
	s_waitcnt vmcnt(4)
	v_mul_f16_sdwa v82, v69, v57 dst_sel:DWORD dst_unused:UNUSED_PAD src0_sel:DWORD src1_sel:WORD_1
	v_mul_f16_sdwa v83, v47, v57 dst_sel:DWORD dst_unused:UNUSED_PAD src0_sel:DWORD src1_sel:WORD_1
	;; [unrolled: 3-line block ×5, first 2 shown]
	v_fma_f16 v42, v42, v52, -v51
	v_fma_f16 v51, v64, v52, v63
	v_fma_f16 v43, v43, v53, -v74
	v_fma_f16 v52, v65, v53, v75
	;; [unrolled: 2-line block ×9, first 2 shown]
	v_pack_b32_f16 v42, v42, v51
	s_waitcnt vmcnt(0)
	v_mul_f16_sdwa v90, v73, v61 dst_sel:DWORD dst_unused:UNUSED_PAD src0_sel:DWORD src1_sel:WORD_1
	v_pack_b32_f16 v43, v43, v52
	v_pack_b32_f16 v44, v44, v53
	;; [unrolled: 1-line block ×8, first 2 shown]
	ds_write2_b32 v22, v41, v42 offset1:12
	ds_write2_b32 v22, v43, v44 offset0:24 offset1:36
	ds_write2_b32 v22, v45, v46 offset0:48 offset1:60
	;; [unrolled: 1-line block ×4, first 2 shown]
	v_mul_f16_sdwa v42, v62, v61 dst_sel:DWORD dst_unused:UNUSED_PAD src0_sel:DWORD src1_sel:WORD_1
	v_fma_f16 v41, v62, v61, -v90
	v_fma_f16 v42, v73, v61, v42
	v_pack_b32_f16 v41, v41, v42
	ds_write_b32 v22, v41 offset:480
.LBB0_9:
	s_or_b64 exec, exec, s[0:1]
	s_waitcnt lgkmcnt(0)
	s_barrier
	s_and_saveexec_b64 s[0:1], vcc
	s_cbranch_execz .LBB0_11
; %bb.10:
	ds_read2_b32 v[9:10], v22 offset1:12
	ds_read2_b32 v[11:12], v22 offset0:24 offset1:36
	ds_read2_b32 v[13:14], v22 offset0:48 offset1:60
	;; [unrolled: 1-line block ×4, first 2 shown]
	ds_read_b32 v23, v22 offset:480
	s_waitcnt lgkmcnt(5)
	v_lshrrev_b32_e32 v34, 16, v9
	v_lshrrev_b32_e32 v35, 16, v10
	s_waitcnt lgkmcnt(4)
	v_lshrrev_b32_e32 v37, 16, v11
	v_lshrrev_b32_e32 v36, 16, v12
	;; [unrolled: 3-line block ×5, first 2 shown]
	s_waitcnt lgkmcnt(0)
	v_lshrrev_b32_e32 v28, 16, v23
.LBB0_11:
	s_or_b64 exec, exec, s[0:1]
	v_add_u32_e32 v40, 0xb0, v40
	s_barrier
	s_and_saveexec_b64 s[0:1], vcc
	s_cbranch_execz .LBB0_13
; %bb.12:
	v_add_f16_e32 v41, v28, v35
	v_mul_f16_e32 v42, 0xbbad, v41
	v_sub_f16_e32 v43, v10, v23
	s_movk_i32 s16, 0x3482
	v_add_f16_e32 v45, v24, v37
	v_fma_f16 v44, v43, s16, v42
	v_mul_f16_e32 v46, 0x3abb, v45
	v_sub_f16_e32 v47, v11, v8
	s_mov_b32 s14, 0xb853
	v_add_f16_e32 v44, v34, v44
	v_fma_f16 v48, v47, s14, v46
	v_add_f16_e32 v44, v48, v44
	v_add_f16_e32 v48, v25, v36
	v_mul_f16_e32 v49, 0xb93d, v48
	v_sub_f16_e32 v50, v12, v7
	s_movk_i32 s23, 0x3a0c
	v_fma_f16 v51, v50, s23, v49
	v_add_f16_e32 v44, v51, v44
	v_add_f16_e32 v51, v26, v38
	v_mul_f16_e32 v52, 0x36a6, v51
	v_sub_f16_e32 v53, v13, v6
	s_mov_b32 s17, 0xbb47
	v_fma_f16 v54, v53, s17, v52
	v_add_f16_e32 v44, v54, v44
	v_add_f16_e32 v54, v27, v39
	v_mul_f16_e32 v55, 0xb08e, v54
	v_sub_f16_e32 v56, v14, v5
	s_movk_i32 s20, 0x3beb
	v_fma_f16 v57, v56, s20, v55
	v_sub_f16_e32 v58, v35, v28
	s_mov_b32 s2, 0xbbad
	v_add_f16_e32 v44, v57, v44
	v_add_f16_e32 v57, v23, v10
	v_mul_f16_e32 v59, 0xb482, v58
	v_sub_f16_e32 v62, v37, v24
	s_movk_i32 s3, 0x3abb
	v_fma_f16 v60, v57, s2, v59
	v_add_f16_e32 v61, v8, v11
	v_mul_f16_e32 v63, 0x3853, v62
	v_add_f16_e32 v60, v9, v60
	v_fma_f16 v64, v61, s3, v63
	v_sub_f16_e32 v65, v36, v25
	s_mov_b32 s4, 0xb93d
	v_add_f16_e32 v60, v64, v60
	v_add_f16_e32 v64, v7, v12
	v_mul_f16_e32 v66, 0xba0c, v65
	v_fma_f16 v67, v64, s4, v66
	v_sub_f16_e32 v68, v38, v26
	s_movk_i32 s5, 0x36a6
	v_add_f16_e32 v60, v67, v60
	v_add_f16_e32 v67, v6, v13
	v_mul_f16_e32 v69, 0x3b47, v68
	v_fma_f16 v70, v67, s5, v69
	v_sub_f16_e32 v71, v39, v27
	s_mov_b32 s15, 0xb08e
	v_add_f16_e32 v60, v70, v60
	v_add_f16_e32 v70, v5, v14
	v_mul_f16_e32 v72, 0xbbeb, v71
	v_fma_f16 v73, v70, s15, v72
	v_add_f16_e32 v60, v73, v60
	v_mul_f16_e32 v73, 0xb93d, v41
	s_mov_b32 s22, 0xbbeb
	v_fma_f16 v74, v43, s23, v73
	v_mul_f16_e32 v75, 0xb08e, v45
	v_add_f16_e32 v74, v34, v74
	v_fma_f16 v76, v47, s22, v75
	s_movk_i32 s21, 0x3853
	v_add_f16_e32 v74, v76, v74
	v_mul_f16_e32 v76, 0x3abb, v48
	v_fma_f16 v77, v50, s21, v76
	v_add_f16_e32 v74, v77, v74
	v_mul_f16_e32 v77, 0xbbad, v51
	v_fma_f16 v78, v53, s16, v77
	;; [unrolled: 3-line block ×4, first 2 shown]
	v_mul_f16_e32 v81, 0x3beb, v62
	v_add_f16_e32 v80, v9, v80
	v_fma_f16 v82, v61, s15, v81
	v_add_f16_e32 v80, v82, v80
	v_mul_f16_e32 v82, 0xb853, v65
	v_add_f16_e32 v10, v10, v9
	v_fma_f16 v83, v64, s3, v82
	v_add_f16_e32 v10, v11, v10
	v_add_f16_e32 v80, v83, v80
	v_mul_f16_e32 v83, 0xb482, v68
	v_add_f16_e32 v10, v12, v10
	v_fma_f16 v84, v67, s2, v83
	v_add_f16_e32 v10, v13, v10
	;; [unrolled: 5-line block ×3, first 2 shown]
	s_mov_b32 s18, 0xb482
	v_add_f16_e32 v80, v85, v80
	v_mul_f16_e32 v85, 0xb08e, v41
	v_add_f16_e32 v5, v6, v5
	v_fma_f16 v86, v43, s20, v85
	v_mul_f16_e32 v87, 0xbbad, v45
	v_add_f16_e32 v5, v7, v5
	v_fma_f16 v7, v43, s18, v42
	s_mov_b32 s19, 0xba0c
	v_add_f16_e32 v86, v34, v86
	v_fma_f16 v88, v47, s18, v87
	v_add_f16_e32 v5, v8, v5
	v_add_f16_e32 v7, v34, v7
	v_fma_f16 v8, v47, s21, v46
	s_movk_i32 s24, 0x3b47
	v_add_f16_e32 v86, v88, v86
	v_mul_f16_e32 v88, 0x36a6, v48
	v_add_f16_e32 v7, v8, v7
	v_fma_f16 v8, v50, s19, v49
	v_fma_f16 v89, v50, s17, v88
	v_add_f16_e32 v7, v8, v7
	v_fma_f16 v8, v53, s24, v52
	v_add_f16_e32 v86, v89, v86
	v_mul_f16_e32 v89, 0x3abb, v51
	v_add_f16_e32 v7, v8, v7
	v_fma_f16 v8, v56, s22, v55
	v_fma_f16 v90, v53, s21, v89
	v_add_f16_e32 v7, v8, v7
	v_fma_f16 v8, v57, s2, -v59
	v_add_f16_e32 v86, v90, v86
	v_mul_f16_e32 v90, 0xb93d, v54
	v_add_f16_e32 v8, v9, v8
	v_fma_f16 v10, v61, s3, -v63
	v_fma_f16 v91, v56, s23, v90
	v_add_f16_e32 v8, v10, v8
	v_fma_f16 v10, v64, s4, -v66
	v_add_f16_e32 v86, v91, v86
	v_mul_f16_e32 v91, 0xbbeb, v58
	v_add_f16_e32 v8, v10, v8
	v_fma_f16 v10, v67, s5, -v69
	v_fma_f16 v92, v57, s15, v91
	v_mul_f16_e32 v93, 0x3482, v62
	v_add_f16_e32 v8, v10, v8
	v_fma_f16 v10, v70, s15, -v72
	v_add_f16_e32 v92, v9, v92
	v_fma_f16 v94, v61, s2, v93
	v_add_f16_e32 v8, v10, v8
	v_fma_f16 v10, v43, s19, v73
	v_add_f16_e32 v92, v94, v92
	v_mul_f16_e32 v94, 0x3b47, v65
	v_add_f16_e32 v10, v34, v10
	v_fma_f16 v11, v47, s20, v75
	v_fma_f16 v95, v64, s5, v94
	v_add_f16_e32 v10, v11, v10
	v_fma_f16 v11, v50, s14, v76
	v_add_f16_e32 v92, v95, v92
	v_mul_f16_e32 v95, 0xb853, v68
	v_add_f16_e32 v10, v11, v10
	v_fma_f16 v11, v53, s18, v77
	v_fma_f16 v96, v67, s3, v95
	v_add_f16_e32 v10, v11, v10
	v_fma_f16 v11, v56, s24, v78
	v_add_f16_e32 v92, v96, v92
	v_mul_f16_e32 v96, 0xba0c, v71
	v_add_f16_e32 v10, v11, v10
	v_fma_f16 v11, v57, s4, -v79
	v_fma_f16 v97, v70, s4, v96
	v_add_f16_e32 v11, v9, v11
	v_fma_f16 v12, v61, s15, -v81
	v_add_f16_e32 v92, v97, v92
	v_mul_f16_e32 v97, 0x36a6, v41
	v_add_f16_e32 v11, v12, v11
	v_fma_f16 v12, v64, s3, -v82
	v_fma_f16 v98, v43, s24, v97
	v_mul_f16_e32 v99, 0xb93d, v45
	v_add_f16_e32 v11, v12, v11
	v_fma_f16 v12, v67, s2, -v83
	v_add_f16_e32 v98, v34, v98
	v_fma_f16 v100, v47, s23, v99
	v_add_f16_e32 v11, v12, v11
	v_fma_f16 v12, v70, s5, -v84
	v_add_f16_e32 v98, v100, v98
	v_mul_f16_e32 v100, 0xbbad, v48
	v_add_f16_e32 v11, v12, v11
	v_fma_f16 v12, v43, s22, v85
	v_fma_f16 v101, v50, s18, v100
	v_add_f16_e32 v12, v34, v12
	v_fma_f16 v13, v47, s16, v87
	v_add_f16_e32 v98, v101, v98
	v_mul_f16_e32 v101, 0xb08e, v51
	v_add_f16_e32 v12, v13, v12
	v_fma_f16 v13, v50, s24, v88
	v_fma_f16 v102, v53, s22, v101
	v_add_f16_e32 v12, v13, v12
	v_fma_f16 v13, v53, s14, v89
	v_add_f16_e32 v98, v102, v98
	v_mul_f16_e32 v102, 0x3abb, v54
	v_add_f16_e32 v12, v13, v12
	v_fma_f16 v13, v56, s19, v90
	v_fma_f16 v103, v56, s14, v102
	v_add_f16_e32 v12, v13, v12
	v_fma_f16 v13, v57, s15, -v91
	v_add_f16_e32 v98, v103, v98
	v_mul_f16_e32 v103, 0xbb47, v58
	v_add_f16_e32 v13, v9, v13
	v_fma_f16 v14, v61, s2, -v93
	v_fma_f16 v104, v57, s5, v103
	v_mul_f16_e32 v105, 0xba0c, v62
	v_add_f16_e32 v13, v14, v13
	v_fma_f16 v14, v64, s5, -v94
	v_add_f16_e32 v104, v9, v104
	v_fma_f16 v106, v61, s4, v105
	v_add_f16_e32 v6, v35, v34
	v_add_f16_e32 v13, v14, v13
	v_fma_f16 v14, v67, s3, -v95
	v_add_f16_e32 v104, v106, v104
	v_mul_f16_e32 v106, 0x3482, v65
	v_add_f16_e32 v6, v37, v6
	v_add_f16_e32 v13, v14, v13
	v_fma_f16 v14, v70, s4, -v96
	v_fma_f16 v107, v64, s2, v106
	v_add_f16_e32 v6, v36, v6
	v_add_f16_e32 v13, v14, v13
	v_fma_f16 v14, v43, s17, v97
	v_add_f16_e32 v104, v107, v104
	v_mul_f16_e32 v107, 0x3beb, v68
	v_add_f16_e32 v5, v23, v5
	v_add_f16_e32 v6, v38, v6
	;; [unrolled: 1-line block ×3, first 2 shown]
	v_fma_f16 v23, v47, s19, v99
	v_fma_f16 v108, v67, s15, v107
	v_add_f16_e32 v6, v39, v6
	v_add_f16_e32 v14, v23, v14
	v_fma_f16 v23, v50, s16, v100
	v_add_f16_e32 v104, v108, v104
	v_mul_f16_e32 v108, 0x3853, v71
	v_add_f16_e32 v6, v27, v6
	v_add_f16_e32 v14, v23, v14
	v_fma_f16 v23, v53, s20, v101
	v_fma_f16 v109, v70, s3, v108
	v_mul_f16_e32 v41, 0x3abb, v41
	v_add_f16_e32 v6, v26, v6
	v_add_f16_e32 v14, v23, v14
	v_fma_f16 v23, v56, s21, v102
	v_add_f16_e32 v104, v109, v104
	v_fma_f16 v109, v43, s21, v41
	v_mul_f16_e32 v45, 0x36a6, v45
	v_add_f16_e32 v6, v25, v6
	v_add_f16_e32 v14, v23, v14
	v_fma_f16 v23, v57, s5, -v103
	v_add_f16_e32 v109, v34, v109
	v_fma_f16 v110, v47, s24, v45
	v_mul_f16_e32 v48, 0xb08e, v48
	v_add_f16_e32 v6, v24, v6
	v_add_f16_e32 v23, v9, v23
	v_fma_f16 v24, v61, s4, -v105
	v_add_f16_e32 v109, v110, v109
	v_fma_f16 v110, v50, s20, v48
	v_mul_f16_e32 v51, 0xb93d, v51
	v_add_f16_e32 v23, v24, v23
	v_fma_f16 v24, v64, s2, -v106
	v_add_f16_e32 v109, v110, v109
	v_fma_f16 v110, v53, s23, v51
	v_mul_f16_e32 v54, 0xbbad, v54
	;; [unrolled: 5-line block ×4, first 2 shown]
	v_add_f16_e32 v23, v24, v23
	v_fma_f16 v24, v43, s14, v41
	v_add_f16_e32 v110, v9, v110
	v_fma_f16 v111, v61, s5, v62
	v_mul_f16_e32 v65, 0xbbeb, v65
	v_add_f16_e32 v24, v34, v24
	v_fma_f16 v25, v47, s17, v45
	v_add_f16_e32 v110, v111, v110
	v_fma_f16 v111, v64, s15, v65
	v_mul_f16_e32 v68, 0xba0c, v68
	;; [unrolled: 5-line block ×3, first 2 shown]
	v_add_f16_e32 v24, v25, v24
	v_fma_f16 v25, v53, s19, v51
	v_add_f16_e32 v110, v111, v110
	v_fma_f16 v111, v70, s2, v71
	;; [unrolled: 2-line block ×3, first 2 shown]
	v_add_f16_e32 v110, v111, v110
	v_add_f16_e32 v6, v28, v6
	;; [unrolled: 1-line block ×3, first 2 shown]
	v_fma_f16 v25, v57, s3, -v58
	v_add_f16_e32 v9, v9, v25
	v_fma_f16 v25, v61, s5, -v62
	v_lshl_add_u32 v19, v20, 2, v19
	v_pack_b32_f16 v20, v110, v109
	v_pack_b32_f16 v5, v5, v6
	v_add_f16_e32 v9, v25, v9
	v_fma_f16 v25, v64, s15, -v65
	ds_write2_b32 v19, v5, v20 offset1:1
	v_pack_b32_f16 v5, v92, v86
	v_pack_b32_f16 v6, v104, v98
	v_add_f16_e32 v9, v25, v9
	v_fma_f16 v25, v67, s4, -v68
	ds_write2_b32 v19, v6, v5 offset0:2 offset1:3
	v_pack_b32_f16 v5, v60, v44
	v_pack_b32_f16 v6, v80, v74
	v_add_f16_e32 v9, v25, v9
	v_fma_f16 v25, v70, s2, -v71
	ds_write2_b32 v19, v6, v5 offset0:4 offset1:5
	v_pack_b32_f16 v5, v11, v10
	v_pack_b32_f16 v6, v8, v7
	v_add_f16_e32 v9, v25, v9
	ds_write2_b32 v19, v6, v5 offset0:6 offset1:7
	v_pack_b32_f16 v5, v23, v14
	v_pack_b32_f16 v6, v13, v12
	ds_write2_b32 v19, v6, v5 offset0:8 offset1:9
	v_pack_b32_f16 v5, v9, v24
	ds_write_b32 v19, v5 offset:40
.LBB0_13:
	s_or_b64 exec, exec, s[0:1]
	s_waitcnt lgkmcnt(0)
	s_barrier
	ds_read2_b32 v[5:6], v21 offset1:22
	ds_read2_b32 v[7:8], v21 offset0:44 offset1:66
	ds_read2_b32 v[9:10], v21 offset0:88 offset1:110
	s_mov_b32 s0, 0xbaee
	s_movk_i32 s1, 0x3aee
	s_waitcnt lgkmcnt(2)
	v_lshrrev_b32_e32 v12, 16, v6
	v_mul_f16_sdwa v23, v0, v12 dst_sel:DWORD dst_unused:UNUSED_PAD src0_sel:WORD_1 src1_sel:DWORD
	s_waitcnt lgkmcnt(1)
	v_lshrrev_b32_e32 v13, 16, v7
	v_fma_f16 v23, v0, v6, v23
	v_mul_f16_sdwa v6, v0, v6 dst_sel:DWORD dst_unused:UNUSED_PAD src0_sel:WORD_1 src1_sel:DWORD
	v_fma_f16 v0, v0, v12, -v6
	v_mul_f16_sdwa v6, v1, v13 dst_sel:DWORD dst_unused:UNUSED_PAD src0_sel:WORD_1 src1_sel:DWORD
	v_lshrrev_b32_e32 v14, 16, v8
	v_fma_f16 v6, v1, v7, v6
	v_mul_f16_sdwa v7, v1, v7 dst_sel:DWORD dst_unused:UNUSED_PAD src0_sel:WORD_1 src1_sel:DWORD
	v_fma_f16 v1, v1, v13, -v7
	v_mul_f16_sdwa v7, v2, v14 dst_sel:DWORD dst_unused:UNUSED_PAD src0_sel:WORD_1 src1_sel:DWORD
	s_waitcnt lgkmcnt(0)
	v_lshrrev_b32_e32 v19, 16, v9
	v_fma_f16 v7, v2, v8, v7
	v_mul_f16_sdwa v8, v2, v8 dst_sel:DWORD dst_unused:UNUSED_PAD src0_sel:WORD_1 src1_sel:DWORD
	v_fma_f16 v2, v2, v14, -v8
	v_mul_f16_sdwa v8, v3, v19 dst_sel:DWORD dst_unused:UNUSED_PAD src0_sel:WORD_1 src1_sel:DWORD
	v_fma_f16 v8, v3, v9, v8
	v_mul_f16_sdwa v9, v3, v9 dst_sel:DWORD dst_unused:UNUSED_PAD src0_sel:WORD_1 src1_sel:DWORD
	v_lshrrev_b32_e32 v20, 16, v10
	v_fma_f16 v3, v3, v19, -v9
	v_add_f16_e32 v13, v6, v8
	v_lshrrev_b32_e32 v11, 16, v5
	v_mul_f16_sdwa v9, v29, v20 dst_sel:DWORD dst_unused:UNUSED_PAD src0_sel:WORD_1 src1_sel:DWORD
	v_add_f16_e32 v12, v5, v6
	v_fma_f16 v5, v13, -0.5, v5
	v_sub_f16_e32 v13, v1, v3
	v_fma_f16 v9, v29, v10, v9
	v_mul_f16_sdwa v10, v29, v10 dst_sel:DWORD dst_unused:UNUSED_PAD src0_sel:WORD_1 src1_sel:DWORD
	v_fma_f16 v14, v13, s0, v5
	v_fma_f16 v5, v13, s1, v5
	v_add_f16_e32 v13, v11, v1
	v_fma_f16 v10, v29, v20, -v10
	v_add_f16_e32 v12, v12, v8
	v_add_f16_e32 v13, v13, v3
	;; [unrolled: 1-line block ×3, first 2 shown]
	v_sub_f16_e32 v3, v6, v8
	v_add_f16_e32 v8, v7, v9
	v_fma_f16 v1, v1, -0.5, v11
	v_fma_f16 v8, v8, -0.5, v23
	v_sub_f16_e32 v11, v2, v10
	v_fma_f16 v19, v11, s0, v8
	v_fma_f16 v8, v11, s1, v8
	v_add_f16_e32 v11, v0, v2
	v_add_f16_e32 v2, v2, v10
	v_fma_f16 v0, v2, -0.5, v0
	v_sub_f16_e32 v2, v7, v9
	v_fma_f16 v6, v3, s1, v1
	v_fma_f16 v1, v3, s0, v1
	v_add_f16_e32 v3, v23, v7
	v_fma_f16 v7, v2, s1, v0
	v_add_f16_e32 v3, v3, v9
	v_fma_f16 v0, v2, s0, v0
	v_mul_f16_e32 v9, 0xbaee, v7
	v_mul_f16_e32 v7, 0.5, v7
	v_add_f16_e32 v11, v11, v10
	v_fma_f16 v9, v19, 0.5, v9
	v_mul_f16_e32 v20, 0xbaee, v0
	v_fma_f16 v7, v19, s1, v7
	v_mul_f16_e32 v0, -0.5, v0
	v_add_f16_e32 v2, v12, v3
	v_add_f16_e32 v10, v14, v9
	v_fma_f16 v20, v8, -0.5, v20
	v_add_f16_e32 v24, v13, v11
	v_add_f16_e32 v19, v6, v7
	v_fma_f16 v0, v8, s1, v0
	v_add_f16_e32 v23, v5, v20
	v_add_f16_e32 v8, v1, v0
	v_sub_f16_e32 v3, v12, v3
	v_sub_f16_e32 v11, v13, v11
	;; [unrolled: 1-line block ×3, first 2 shown]
	v_pack_b32_f16 v1, v2, v24
	v_pack_b32_f16 v2, v10, v19
	v_sub_f16_e32 v9, v14, v9
	v_sub_f16_e32 v5, v5, v20
	;; [unrolled: 1-line block ×3, first 2 shown]
	s_barrier
	ds_write2_b32 v30, v1, v2 offset1:11
	v_pack_b32_f16 v1, v23, v8
	v_pack_b32_f16 v2, v3, v11
	ds_write2_b32 v30, v1, v2 offset0:22 offset1:33
	v_pack_b32_f16 v1, v9, v6
	v_pack_b32_f16 v0, v5, v0
	ds_write2_b32 v30, v1, v0 offset0:44 offset1:55
	s_waitcnt lgkmcnt(0)
	s_barrier
	ds_read2_b32 v[0:1], v21 offset1:22
	ds_read2_b32 v[2:3], v21 offset0:44 offset1:66
	ds_read2_b32 v[5:6], v21 offset0:88 offset1:110
	s_waitcnt lgkmcnt(2)
	v_lshrrev_b32_e32 v7, 16, v0
	s_waitcnt lgkmcnt(1)
	v_lshrrev_b32_e32 v8, 16, v3
	v_mul_f16_sdwa v13, v31, v8 dst_sel:DWORD dst_unused:UNUSED_PAD src0_sel:WORD_1 src1_sel:DWORD
	s_waitcnt lgkmcnt(0)
	v_lshrrev_b32_e32 v10, 16, v5
	v_fma_f16 v13, v31, v3, v13
	v_mul_f16_sdwa v3, v31, v3 dst_sel:DWORD dst_unused:UNUSED_PAD src0_sel:WORD_1 src1_sel:DWORD
	v_fma_f16 v3, v31, v8, -v3
	v_mul_f16_sdwa v8, v32, v10 dst_sel:DWORD dst_unused:UNUSED_PAD src0_sel:WORD_1 src1_sel:DWORD
	v_lshrrev_b32_e32 v12, 16, v6
	v_fma_f16 v8, v32, v5, v8
	v_mul_f16_sdwa v5, v32, v5 dst_sel:DWORD dst_unused:UNUSED_PAD src0_sel:WORD_1 src1_sel:DWORD
	v_fma_f16 v5, v32, v10, -v5
	v_mul_f16_sdwa v10, v33, v12 dst_sel:DWORD dst_unused:UNUSED_PAD src0_sel:WORD_1 src1_sel:DWORD
	v_lshrrev_b32_e32 v9, 16, v1
	v_fma_f16 v10, v33, v6, v10
	v_mul_f16_sdwa v6, v33, v6 dst_sel:DWORD dst_unused:UNUSED_PAD src0_sel:WORD_1 src1_sel:DWORD
	v_fma_f16 v6, v33, v12, -v6
	v_sub_f16_e32 v12, v0, v13
	v_sub_f16_e32 v3, v7, v3
	;; [unrolled: 1-line block ×4, first 2 shown]
	v_lshrrev_b32_e32 v11, 16, v2
	v_fma_f16 v0, v0, 2.0, -v12
	v_fma_f16 v7, v7, 2.0, -v3
	;; [unrolled: 1-line block ×4, first 2 shown]
	v_sub_f16_e32 v10, v2, v10
	v_sub_f16_e32 v6, v11, v6
	v_pack_b32_f16 v0, v0, v7
	v_pack_b32_f16 v1, v1, v9
	v_fma_f16 v2, v2, 2.0, -v10
	v_fma_f16 v11, v11, 2.0, -v6
	ds_write2_b32 v22, v0, v1 offset1:22
	v_pack_b32_f16 v0, v8, v5
	v_pack_b32_f16 v3, v12, v3
	ds_write_b32 v22, v0 offset:352
	v_pack_b32_f16 v0, v2, v11
	ds_write2_b32 v22, v0, v3 offset0:44 offset1:66
	v_pack_b32_f16 v0, v10, v6
	ds_write_b32 v40, v0 offset:264
	s_waitcnt lgkmcnt(0)
	s_barrier
	s_and_b64 exec, exec, vcc
	s_cbranch_execz .LBB0_15
; %bb.14:
	global_load_dword v9, v16, s[6:7]
	global_load_dword v8, v16, s[6:7] offset:48
	ds_read_b32 v19, v22
	v_mad_u64_u32 v[0:1], s[0:1], s10, v4, 0
	v_mad_u64_u32 v[2:3], s[0:1], s8, v15, 0
	v_lshl_add_u32 v6, v18, 2, v16
	s_mov_b32 s14, 0xf07c1f08
	v_mad_u64_u32 v[22:23], s[0:1], s11, v4, v[1:2]
	s_waitcnt lgkmcnt(0)
	v_lshrrev_b32_e32 v1, 16, v19
	s_mov_b32 s15, 0x3f7f07c1
	s_movk_i32 s18, 0x1ff
	s_movk_i32 s17, 0xffe
	global_load_dword v10, v16, s[6:7] offset:96
	global_load_dword v11, v16, s[6:7] offset:144
	global_load_dword v12, v16, s[6:7] offset:192
	global_load_dword v13, v16, s[6:7] offset:240
	global_load_dword v14, v16, s[6:7] offset:288
	global_load_dword v7, v16, s[6:7] offset:336
	ds_read2_b32 v[20:21], v6 offset0:12 offset1:24
	v_mov_b32_e32 v5, 0x7c00
	s_movk_i32 s16, 0x40f
	s_mov_b32 s10, 0x8000
	s_waitcnt vmcnt(7)
	v_mul_f16_sdwa v4, v1, v9 dst_sel:DWORD dst_unused:UNUSED_PAD src0_sel:DWORD src1_sel:WORD_1
	v_fma_f16 v4, v19, v9, v4
	v_mul_f16_sdwa v18, v19, v9 dst_sel:DWORD dst_unused:UNUSED_PAD src0_sel:DWORD src1_sel:WORD_1
	v_cvt_f32_f16_e32 v4, v4
	v_fma_f16 v1, v9, v1, -v18
	v_cvt_f32_f16_e32 v1, v1
	v_cvt_f64_f32_e32 v[18:19], v4
	v_mad_u64_u32 v[3:4], s[0:1], s9, v15, v[3:4]
	v_cvt_f64_f32_e32 v[23:24], v1
	v_mul_f64 v[18:19], v[18:19], s[14:15]
	v_mov_b32_e32 v1, v22
	s_waitcnt lgkmcnt(0)
	v_lshrrev_b32_e32 v4, 16, v20
	v_mul_f64 v[22:23], v[23:24], s[14:15]
	s_waitcnt vmcnt(6)
	v_mul_f16_sdwa v9, v4, v8 dst_sel:DWORD dst_unused:UNUSED_PAD src0_sel:DWORD src1_sel:WORD_1
	v_fma_f16 v9, v20, v8, v9
	v_cvt_f32_f16_e32 v9, v9
	v_lshlrev_b64 v[0:1], 2, v[0:1]
	v_and_or_b32 v18, v19, s18, v18
	v_cmp_ne_u32_e32 vcc, 0, v18
	v_lshrrev_b32_e32 v24, 8, v19
	v_and_or_b32 v22, v23, s18, v22
	v_bfe_u32 v25, v19, 20, 11
	v_cndmask_b32_e64 v18, 0, 1, vcc
	v_cmp_ne_u32_e32 vcc, 0, v22
	v_lshrrev_b32_e32 v26, 8, v23
	v_bfe_u32 v27, v23, 20, 11
	v_sub_u32_e32 v28, 0x3f1, v25
	v_cndmask_b32_e64 v22, 0, 1, vcc
	v_and_or_b32 v18, v24, s17, v18
	v_sub_u32_e32 v29, 0x3f1, v27
	v_med3_i32 v24, v28, 0, 13
	v_and_or_b32 v22, v26, s17, v22
	v_or_b32_e32 v28, 0x1000, v18
	v_add_u32_e32 v25, 0xfffffc10, v25
	v_med3_i32 v26, v29, 0, 13
	v_cmp_ne_u32_e32 vcc, 0, v18
	v_or_b32_e32 v30, 0x1000, v22
	v_lshrrev_b32_e32 v32, v24, v28
	v_add_u32_e32 v27, 0xfffffc10, v27
	v_lshl_or_b32 v29, v25, 12, v18
	v_cndmask_b32_e64 v18, 0, 1, vcc
	v_cmp_ne_u32_e32 vcc, 0, v22
	v_lshrrev_b32_e32 v33, v26, v30
	v_lshlrev_b32_e32 v24, v24, v32
	v_lshl_or_b32 v31, v27, 12, v22
	v_cndmask_b32_e64 v22, 0, 1, vcc
	v_lshlrev_b32_e32 v26, v26, v33
	v_cmp_ne_u32_e32 vcc, v24, v28
	v_cndmask_b32_e64 v24, 0, 1, vcc
	v_cmp_ne_u32_e32 vcc, v26, v30
	v_cndmask_b32_e64 v26, 0, 1, vcc
	v_or_b32_e32 v24, v32, v24
	v_cmp_gt_i32_e32 vcc, 1, v25
	v_cndmask_b32_e32 v24, v29, v24, vcc
	v_or_b32_e32 v26, v33, v26
	v_cmp_gt_i32_e32 vcc, 1, v27
	v_and_b32_e32 v28, 7, v24
	v_cndmask_b32_e32 v26, v31, v26, vcc
	v_cmp_lt_i32_e32 vcc, 5, v28
	v_cmp_eq_u32_e64 s[0:1], 3, v28
	v_lshrrev_b32_e32 v24, 2, v24
	v_and_b32_e32 v29, 7, v26
	s_or_b64 vcc, s[0:1], vcc
	v_cmp_lt_i32_e64 s[2:3], 5, v29
	v_cmp_eq_u32_e64 s[4:5], 3, v29
	v_addc_co_u32_e32 v24, vcc, 0, v24, vcc
	v_lshrrev_b32_e32 v26, 2, v26
	s_or_b64 vcc, s[4:5], s[2:3]
	v_addc_co_u32_e32 v26, vcc, 0, v26, vcc
	v_cmp_gt_i32_e32 vcc, 31, v25
	v_cndmask_b32_e32 v24, v5, v24, vcc
	v_cmp_gt_i32_e32 vcc, 31, v27
	v_lshl_or_b32 v18, v18, 9, v5
	v_cndmask_b32_e32 v26, v5, v26, vcc
	v_cmp_eq_u32_e32 vcc, s16, v25
	v_lshrrev_b32_e32 v19, 16, v19
	v_lshl_or_b32 v22, v22, 9, v5
	v_cndmask_b32_e32 v18, v24, v18, vcc
	v_cmp_eq_u32_e32 vcc, s16, v27
	v_lshrrev_b32_e32 v23, 16, v23
	v_cndmask_b32_e32 v22, v26, v22, vcc
	v_and_or_b32 v18, v19, s10, v18
	v_and_or_b32 v22, v23, s10, v22
	v_and_b32_e32 v23, 0xffff, v18
	v_cvt_f64_f32_e32 v[18:19], v9
	v_lshl_or_b32 v9, v22, 16, v23
	v_mov_b32_e32 v22, s13
	v_add_co_u32_e32 v0, vcc, s12, v0
	v_mul_f64 v[18:19], v[18:19], s[14:15]
	v_lshlrev_b64 v[2:3], 2, v[2:3]
	v_addc_co_u32_e32 v1, vcc, v22, v1, vcc
	v_add_co_u32_e32 v2, vcc, v0, v2
	v_addc_co_u32_e32 v3, vcc, v1, v3, vcc
	global_store_dword v[2:3], v9, off
	v_and_or_b32 v9, v19, s18, v18
	v_cmp_ne_u32_e32 vcc, 0, v9
	v_cndmask_b32_e64 v9, 0, 1, vcc
	v_lshrrev_b32_e32 v18, 8, v19
	v_bfe_u32 v22, v19, 20, 11
	v_and_or_b32 v18, v18, s17, v9
	v_sub_u32_e32 v23, 0x3f1, v22
	v_or_b32_e32 v9, 0x1000, v18
	v_med3_i32 v23, v23, 0, 13
	v_lshrrev_b32_e32 v24, v23, v9
	v_mul_f16_sdwa v20, v20, v8 dst_sel:DWORD dst_unused:UNUSED_PAD src0_sel:DWORD src1_sel:WORD_1
	v_lshlrev_b32_e32 v23, v23, v24
	v_fma_f16 v4, v8, v4, -v20
	v_cmp_ne_u32_e32 vcc, v23, v9
	v_cvt_f32_f16_e32 v4, v4
	v_cndmask_b32_e64 v9, 0, 1, vcc
	v_add_u32_e32 v22, 0xfffffc10, v22
	v_or_b32_e32 v9, v24, v9
	v_lshl_or_b32 v23, v22, 12, v18
	v_cmp_gt_i32_e32 vcc, 1, v22
	v_cndmask_b32_e32 v9, v23, v9, vcc
	v_and_b32_e32 v23, 7, v9
	v_lshrrev_b32_e32 v20, 2, v9
	v_cvt_f64_f32_e32 v[8:9], v4
	v_cmp_lt_i32_e32 vcc, 5, v23
	v_cmp_eq_u32_e64 s[0:1], 3, v23
	s_or_b64 vcc, s[0:1], vcc
	v_mul_f64 v[8:9], v[8:9], s[14:15]
	v_addc_co_u32_e32 v4, vcc, 0, v20, vcc
	v_cmp_gt_i32_e32 vcc, 31, v22
	v_cndmask_b32_e32 v4, v5, v4, vcc
	v_cmp_ne_u32_e32 vcc, 0, v18
	v_cndmask_b32_e64 v18, 0, 1, vcc
	v_lshl_or_b32 v18, v18, 9, v5
	v_cmp_eq_u32_e32 vcc, s16, v22
	v_and_or_b32 v8, v9, s18, v8
	v_cndmask_b32_e32 v4, v4, v18, vcc
	v_lshrrev_b32_e32 v18, 16, v19
	v_cmp_ne_u32_e32 vcc, 0, v8
	v_and_or_b32 v4, v18, s10, v4
	v_cndmask_b32_e64 v8, 0, 1, vcc
	v_lshrrev_b32_e32 v18, 8, v9
	v_bfe_u32 v19, v9, 20, 11
	v_and_or_b32 v8, v18, s17, v8
	v_sub_u32_e32 v20, 0x3f1, v19
	v_or_b32_e32 v18, 0x1000, v8
	v_med3_i32 v20, v20, 0, 13
	v_lshrrev_b32_e32 v22, v20, v18
	v_lshlrev_b32_e32 v20, v20, v22
	v_cmp_ne_u32_e32 vcc, v20, v18
	v_cndmask_b32_e64 v18, 0, 1, vcc
	v_add_u32_e32 v19, 0xfffffc10, v19
	v_or_b32_e32 v18, v22, v18
	v_lshl_or_b32 v20, v19, 12, v8
	v_cmp_gt_i32_e32 vcc, 1, v19
	v_cndmask_b32_e32 v18, v20, v18, vcc
	v_and_b32_e32 v20, 7, v18
	v_cmp_lt_i32_e32 vcc, 5, v20
	v_cmp_eq_u32_e64 s[0:1], 3, v20
	v_lshrrev_b32_e32 v18, 2, v18
	s_or_b64 vcc, s[0:1], vcc
	v_addc_co_u32_e32 v18, vcc, 0, v18, vcc
	v_cmp_gt_i32_e32 vcc, 31, v19
	v_cndmask_b32_e32 v18, v5, v18, vcc
	v_cmp_ne_u32_e32 vcc, 0, v8
	v_cndmask_b32_e64 v8, 0, 1, vcc
	v_lshl_or_b32 v8, v8, 9, v5
	v_cmp_eq_u32_e32 vcc, s16, v19
	v_cndmask_b32_e32 v8, v18, v8, vcc
	v_lshrrev_b32_e32 v18, 16, v21
	s_waitcnt vmcnt(6)
	v_mul_f16_sdwa v19, v18, v10 dst_sel:DWORD dst_unused:UNUSED_PAD src0_sel:DWORD src1_sel:WORD_1
	v_fma_f16 v19, v21, v10, v19
	v_cvt_f32_f16_e32 v19, v19
	v_lshrrev_b32_e32 v9, 16, v9
	v_and_or_b32 v8, v9, s10, v8
	v_and_b32_e32 v4, 0xffff, v4
	v_lshl_or_b32 v4, v8, 16, v4
	v_cvt_f64_f32_e32 v[8:9], v19
	s_mul_i32 s0, s9, 48
	s_mul_hi_u32 s2, s8, 48
	s_add_i32 s2, s2, s0
	v_mul_f64 v[8:9], v[8:9], s[14:15]
	s_mul_i32 s3, s8, 48
	v_mov_b32_e32 v19, s2
	v_add_co_u32_e32 v2, vcc, s3, v2
	v_addc_co_u32_e32 v3, vcc, v3, v19, vcc
	global_store_dword v[2:3], v4, off
	v_and_or_b32 v4, v9, s18, v8
	v_cmp_ne_u32_e32 vcc, 0, v4
	v_cndmask_b32_e64 v4, 0, 1, vcc
	v_lshrrev_b32_e32 v8, 8, v9
	v_bfe_u32 v19, v9, 20, 11
	v_and_or_b32 v4, v8, s17, v4
	v_sub_u32_e32 v20, 0x3f1, v19
	v_or_b32_e32 v8, 0x1000, v4
	v_med3_i32 v20, v20, 0, 13
	v_lshrrev_b32_e32 v22, v20, v8
	v_lshlrev_b32_e32 v20, v20, v22
	v_mul_f16_sdwa v21, v21, v10 dst_sel:DWORD dst_unused:UNUSED_PAD src0_sel:DWORD src1_sel:WORD_1
	v_cmp_ne_u32_e32 vcc, v20, v8
	v_fma_f16 v10, v10, v18, -v21
	v_cndmask_b32_e64 v8, 0, 1, vcc
	v_add_u32_e32 v20, 0xfffffc10, v19
	v_cvt_f32_f16_e32 v10, v10
	v_or_b32_e32 v8, v22, v8
	v_lshl_or_b32 v19, v20, 12, v4
	v_cmp_gt_i32_e32 vcc, 1, v20
	v_cndmask_b32_e32 v8, v19, v8, vcc
	v_and_b32_e32 v19, 7, v8
	v_cmp_lt_i32_e32 vcc, 5, v19
	v_cmp_eq_u32_e64 s[0:1], 3, v19
	v_cvt_f64_f32_e32 v[18:19], v10
	v_lshrrev_b32_e32 v8, 2, v8
	s_or_b64 vcc, s[0:1], vcc
	v_addc_co_u32_e32 v8, vcc, 0, v8, vcc
	v_mul_f64 v[18:19], v[18:19], s[14:15]
	v_cmp_gt_i32_e32 vcc, 31, v20
	v_cndmask_b32_e32 v8, v5, v8, vcc
	v_cmp_ne_u32_e32 vcc, 0, v4
	v_cndmask_b32_e64 v4, 0, 1, vcc
	v_lshl_or_b32 v4, v4, 9, v5
	v_cmp_eq_u32_e32 vcc, s16, v20
	v_cndmask_b32_e32 v4, v8, v4, vcc
	v_lshrrev_b32_e32 v8, 16, v9
	v_and_or_b32 v4, v8, s10, v4
	v_and_or_b32 v8, v19, s18, v18
	v_cmp_ne_u32_e32 vcc, 0, v8
	v_cndmask_b32_e64 v8, 0, 1, vcc
	v_lshrrev_b32_e32 v9, 8, v19
	v_and_or_b32 v10, v9, s17, v8
	v_bfe_u32 v9, v19, 20, 11
	v_sub_u32_e32 v18, 0x3f1, v9
	v_or_b32_e32 v8, 0x1000, v10
	v_med3_i32 v18, v18, 0, 13
	v_lshrrev_b32_e32 v20, v18, v8
	v_lshlrev_b32_e32 v18, v18, v20
	v_cmp_ne_u32_e32 vcc, v18, v8
	v_cndmask_b32_e64 v8, 0, 1, vcc
	v_add_u32_e32 v18, 0xfffffc10, v9
	v_or_b32_e32 v8, v20, v8
	v_lshl_or_b32 v9, v18, 12, v10
	v_cmp_gt_i32_e32 vcc, 1, v18
	v_cndmask_b32_e32 v8, v9, v8, vcc
	v_and_b32_e32 v9, 7, v8
	v_cmp_lt_i32_e32 vcc, 5, v9
	v_cmp_eq_u32_e64 s[0:1], 3, v9
	v_lshrrev_b32_e32 v8, 2, v8
	s_or_b64 vcc, s[0:1], vcc
	v_addc_co_u32_e32 v20, vcc, 0, v8, vcc
	ds_read2_b32 v[8:9], v6 offset0:36 offset1:48
	v_cmp_gt_i32_e32 vcc, 31, v18
	v_cndmask_b32_e32 v20, v5, v20, vcc
	v_cmp_ne_u32_e32 vcc, 0, v10
	v_cndmask_b32_e64 v10, 0, 1, vcc
	s_waitcnt lgkmcnt(0)
	v_lshrrev_b32_e32 v22, 16, v8
	s_waitcnt vmcnt(6)
	v_mul_f16_sdwa v21, v22, v11 dst_sel:DWORD dst_unused:UNUSED_PAD src0_sel:DWORD src1_sel:WORD_1
	v_fma_f16 v21, v8, v11, v21
	v_cvt_f32_f16_e32 v21, v21
	v_lshl_or_b32 v10, v10, 9, v5
	v_cmp_eq_u32_e32 vcc, s16, v18
	v_cndmask_b32_e32 v10, v20, v10, vcc
	v_cvt_f64_f32_e32 v[20:21], v21
	v_lshrrev_b32_e32 v18, 16, v19
	v_and_or_b32 v10, v18, s10, v10
	v_and_b32_e32 v4, 0xffff, v4
	v_mul_f64 v[18:19], v[20:21], s[14:15]
	v_lshl_or_b32 v4, v10, 16, v4
	v_mov_b32_e32 v10, s2
	v_add_co_u32_e32 v2, vcc, s3, v2
	v_addc_co_u32_e32 v3, vcc, v3, v10, vcc
	global_store_dword v[2:3], v4, off
	v_and_or_b32 v4, v19, s18, v18
	v_cmp_ne_u32_e32 vcc, 0, v4
	v_cndmask_b32_e64 v4, 0, 1, vcc
	v_lshrrev_b32_e32 v10, 8, v19
	v_bfe_u32 v18, v19, 20, 11
	v_and_or_b32 v4, v10, s17, v4
	v_sub_u32_e32 v20, 0x3f1, v18
	v_or_b32_e32 v10, 0x1000, v4
	v_med3_i32 v20, v20, 0, 13
	v_lshrrev_b32_e32 v21, v20, v10
	v_lshlrev_b32_e32 v20, v20, v21
	v_mul_f16_sdwa v8, v8, v11 dst_sel:DWORD dst_unused:UNUSED_PAD src0_sel:DWORD src1_sel:WORD_1
	v_cmp_ne_u32_e32 vcc, v20, v10
	v_fma_f16 v8, v11, v22, -v8
	v_cndmask_b32_e64 v10, 0, 1, vcc
	v_add_u32_e32 v18, 0xfffffc10, v18
	v_cvt_f32_f16_e32 v8, v8
	v_or_b32_e32 v10, v21, v10
	v_lshl_or_b32 v20, v18, 12, v4
	v_cmp_gt_i32_e32 vcc, 1, v18
	v_cndmask_b32_e32 v10, v20, v10, vcc
	v_and_b32_e32 v20, 7, v10
	v_cmp_lt_i32_e32 vcc, 5, v20
	v_cmp_eq_u32_e64 s[0:1], 3, v20
	v_lshrrev_b32_e32 v20, 2, v10
	v_cvt_f64_f32_e32 v[10:11], v8
	s_or_b64 vcc, s[0:1], vcc
	v_addc_co_u32_e32 v8, vcc, 0, v20, vcc
	v_mul_f64 v[10:11], v[10:11], s[14:15]
	v_cmp_gt_i32_e32 vcc, 31, v18
	v_cndmask_b32_e32 v8, v5, v8, vcc
	v_cmp_ne_u32_e32 vcc, 0, v4
	v_cndmask_b32_e64 v4, 0, 1, vcc
	v_lshl_or_b32 v4, v4, 9, v5
	v_cmp_eq_u32_e32 vcc, s16, v18
	v_cndmask_b32_e32 v4, v8, v4, vcc
	v_lshrrev_b32_e32 v8, 16, v19
	v_and_or_b32 v4, v8, s10, v4
	v_and_or_b32 v8, v11, s18, v10
	v_cmp_ne_u32_e32 vcc, 0, v8
	v_cndmask_b32_e64 v8, 0, 1, vcc
	v_lshrrev_b32_e32 v10, 8, v11
	v_bfe_u32 v18, v11, 20, 11
	v_and_or_b32 v8, v10, s17, v8
	v_sub_u32_e32 v19, 0x3f1, v18
	v_or_b32_e32 v10, 0x1000, v8
	v_med3_i32 v19, v19, 0, 13
	v_lshrrev_b32_e32 v20, v19, v10
	v_lshlrev_b32_e32 v19, v19, v20
	v_cmp_ne_u32_e32 vcc, v19, v10
	v_cndmask_b32_e64 v10, 0, 1, vcc
	v_add_u32_e32 v18, 0xfffffc10, v18
	v_or_b32_e32 v10, v20, v10
	v_lshl_or_b32 v19, v18, 12, v8
	v_cmp_gt_i32_e32 vcc, 1, v18
	v_cndmask_b32_e32 v10, v19, v10, vcc
	v_and_b32_e32 v19, 7, v10
	v_lshrrev_b32_e32 v20, 16, v9
	v_cmp_lt_i32_e32 vcc, 5, v19
	v_cmp_eq_u32_e64 s[0:1], 3, v19
	s_waitcnt vmcnt(6)
	v_mul_f16_sdwa v19, v20, v12 dst_sel:DWORD dst_unused:UNUSED_PAD src0_sel:DWORD src1_sel:WORD_1
	v_fma_f16 v19, v9, v12, v19
	v_lshrrev_b32_e32 v10, 2, v10
	s_or_b64 vcc, s[0:1], vcc
	v_cvt_f32_f16_e32 v19, v19
	v_addc_co_u32_e32 v10, vcc, 0, v10, vcc
	v_cmp_gt_i32_e32 vcc, 31, v18
	v_cndmask_b32_e32 v10, v5, v10, vcc
	v_cmp_ne_u32_e32 vcc, 0, v8
	v_cndmask_b32_e64 v8, 0, 1, vcc
	v_cmp_eq_u32_e32 vcc, s16, v18
	v_cvt_f64_f32_e32 v[18:19], v19
	v_lshl_or_b32 v8, v8, 9, v5
	v_cndmask_b32_e32 v8, v10, v8, vcc
	v_lshrrev_b32_e32 v10, 16, v11
	v_and_or_b32 v8, v10, s10, v8
	v_mul_f64 v[10:11], v[18:19], s[14:15]
	v_and_b32_e32 v4, 0xffff, v4
	v_lshl_or_b32 v4, v8, 16, v4
	v_mov_b32_e32 v8, s2
	v_add_co_u32_e32 v18, vcc, s3, v2
	v_addc_co_u32_e32 v19, vcc, v3, v8, vcc
	v_and_or_b32 v2, v11, s18, v10
	v_cmp_ne_u32_e32 vcc, 0, v2
	v_cndmask_b32_e64 v2, 0, 1, vcc
	v_lshrrev_b32_e32 v3, 8, v11
	global_store_dword v[18:19], v4, off
	v_and_or_b32 v4, v3, s17, v2
	v_bfe_u32 v3, v11, 20, 11
	v_sub_u32_e32 v8, 0x3f1, v3
	v_or_b32_e32 v2, 0x1000, v4
	v_med3_i32 v8, v8, 0, 13
	v_lshrrev_b32_e32 v10, v8, v2
	v_lshlrev_b32_e32 v8, v8, v10
	v_mul_f16_sdwa v9, v9, v12 dst_sel:DWORD dst_unused:UNUSED_PAD src0_sel:DWORD src1_sel:WORD_1
	v_cmp_ne_u32_e32 vcc, v8, v2
	v_fma_f16 v9, v12, v20, -v9
	v_cndmask_b32_e64 v2, 0, 1, vcc
	v_add_u32_e32 v8, 0xfffffc10, v3
	v_cvt_f32_f16_e32 v9, v9
	v_or_b32_e32 v2, v10, v2
	v_lshl_or_b32 v3, v8, 12, v4
	v_cmp_gt_i32_e32 vcc, 1, v8
	v_cndmask_b32_e32 v2, v3, v2, vcc
	v_and_b32_e32 v3, 7, v2
	v_cmp_lt_i32_e32 vcc, 5, v3
	v_cmp_eq_u32_e64 s[0:1], 3, v3
	v_lshrrev_b32_e32 v10, 2, v2
	v_cvt_f64_f32_e32 v[2:3], v9
	s_or_b64 vcc, s[0:1], vcc
	v_addc_co_u32_e32 v9, vcc, 0, v10, vcc
	v_mul_f64 v[2:3], v[2:3], s[14:15]
	v_cmp_gt_i32_e32 vcc, 31, v8
	v_cndmask_b32_e32 v9, v5, v9, vcc
	v_cmp_ne_u32_e32 vcc, 0, v4
	v_cndmask_b32_e64 v4, 0, 1, vcc
	v_lshl_or_b32 v4, v4, 9, v5
	v_cmp_eq_u32_e32 vcc, s16, v8
	v_cndmask_b32_e32 v4, v9, v4, vcc
	v_and_or_b32 v2, v3, s18, v2
	v_lshrrev_b32_e32 v8, 16, v11
	v_cmp_ne_u32_e32 vcc, 0, v2
	v_and_or_b32 v4, v8, s10, v4
	v_cndmask_b32_e64 v2, 0, 1, vcc
	v_lshrrev_b32_e32 v8, 8, v3
	v_bfe_u32 v9, v3, 20, 11
	v_and_or_b32 v2, v8, s17, v2
	v_sub_u32_e32 v10, 0x3f1, v9
	v_or_b32_e32 v8, 0x1000, v2
	v_med3_i32 v10, v10, 0, 13
	v_lshrrev_b32_e32 v11, v10, v8
	v_lshlrev_b32_e32 v10, v10, v11
	v_cmp_ne_u32_e32 vcc, v10, v8
	v_cndmask_b32_e64 v8, 0, 1, vcc
	v_add_u32_e32 v12, 0xfffffc10, v9
	v_or_b32_e32 v8, v11, v8
	v_lshl_or_b32 v9, v12, 12, v2
	v_cmp_gt_i32_e32 vcc, 1, v12
	v_cndmask_b32_e32 v8, v9, v8, vcc
	v_and_b32_e32 v9, 7, v8
	v_cmp_lt_i32_e32 vcc, 5, v9
	v_cmp_eq_u32_e64 s[0:1], 3, v9
	v_lshrrev_b32_e32 v8, 2, v8
	s_or_b64 vcc, s[0:1], vcc
	v_addc_co_u32_e32 v8, vcc, 0, v8, vcc
	ds_read2_b32 v[10:11], v6 offset0:60 offset1:72
	v_cmp_gt_i32_e32 vcc, 31, v12
	v_cndmask_b32_e32 v20, v5, v8, vcc
	v_mad_u64_u32 v[8:9], s[0:1], s8, v17, 0
	v_cmp_ne_u32_e32 vcc, 0, v2
	v_cndmask_b32_e64 v2, 0, 1, vcc
	v_lshl_or_b32 v2, v2, 9, v5
	v_cmp_eq_u32_e32 vcc, s16, v12
	s_waitcnt lgkmcnt(0)
	v_lshrrev_b32_e32 v22, 16, v10
	v_cndmask_b32_e32 v12, v20, v2, vcc
	v_mov_b32_e32 v2, v9
	s_waitcnt vmcnt(6)
	v_mul_f16_sdwa v9, v22, v13 dst_sel:DWORD dst_unused:UNUSED_PAD src0_sel:DWORD src1_sel:WORD_1
	v_fma_f16 v9, v10, v13, v9
	v_cvt_f32_f16_e32 v9, v9
	v_mad_u64_u32 v[20:21], s[0:1], s9, v17, v[2:3]
	v_lshrrev_b32_e32 v17, 16, v3
	v_cvt_f64_f32_e32 v[2:3], v9
	v_mov_b32_e32 v9, v20
	v_lshlrev_b64 v[8:9], 2, v[8:9]
	v_and_or_b32 v12, v17, s10, v12
	v_mul_f64 v[2:3], v[2:3], s[14:15]
	v_add_co_u32_e32 v8, vcc, v0, v8
	v_and_b32_e32 v4, 0xffff, v4
	v_addc_co_u32_e32 v9, vcc, v1, v9, vcc
	v_lshl_or_b32 v4, v12, 16, v4
	global_store_dword v[8:9], v4, off
	v_and_or_b32 v2, v3, s18, v2
	v_cmp_ne_u32_e32 vcc, 0, v2
	v_cndmask_b32_e64 v2, 0, 1, vcc
	v_lshrrev_b32_e32 v4, 8, v3
	v_bfe_u32 v8, v3, 20, 11
	v_and_or_b32 v2, v4, s17, v2
	v_sub_u32_e32 v9, 0x3f1, v8
	v_or_b32_e32 v4, 0x1000, v2
	v_med3_i32 v9, v9, 0, 13
	v_lshrrev_b32_e32 v12, v9, v4
	v_lshlrev_b32_e32 v9, v9, v12
	v_cmp_ne_u32_e32 vcc, v9, v4
	v_mul_f16_sdwa v9, v10, v13 dst_sel:DWORD dst_unused:UNUSED_PAD src0_sel:DWORD src1_sel:WORD_1
	v_cndmask_b32_e64 v4, 0, 1, vcc
	v_fma_f16 v9, v13, v22, -v9
	v_or_b32_e32 v4, v12, v4
	v_add_u32_e32 v12, 0xfffffc10, v8
	v_cvt_f32_f16_e32 v9, v9
	v_lshl_or_b32 v8, v12, 12, v2
	v_cmp_gt_i32_e32 vcc, 1, v12
	v_cndmask_b32_e32 v4, v8, v4, vcc
	v_and_b32_e32 v8, 7, v4
	v_cmp_lt_i32_e32 vcc, 5, v8
	v_cmp_eq_u32_e64 s[0:1], 3, v8
	v_cvt_f64_f32_e32 v[8:9], v9
	v_lshrrev_b32_e32 v4, 2, v4
	s_or_b64 vcc, s[0:1], vcc
	v_addc_co_u32_e32 v4, vcc, 0, v4, vcc
	v_mul_f64 v[8:9], v[8:9], s[14:15]
	v_cmp_gt_i32_e32 vcc, 31, v12
	v_cndmask_b32_e32 v4, v5, v4, vcc
	v_cmp_ne_u32_e32 vcc, 0, v2
	v_cndmask_b32_e64 v2, 0, 1, vcc
	v_lshl_or_b32 v2, v2, 9, v5
	v_cmp_eq_u32_e32 vcc, s16, v12
	v_cndmask_b32_e32 v2, v4, v2, vcc
	v_lshrrev_b32_e32 v3, 16, v3
	v_and_or_b32 v10, v3, s10, v2
	v_and_or_b32 v2, v9, s18, v8
	v_cmp_ne_u32_e32 vcc, 0, v2
	v_cndmask_b32_e64 v2, 0, 1, vcc
	v_lshrrev_b32_e32 v3, 8, v9
	v_bfe_u32 v4, v9, 20, 11
	v_and_or_b32 v2, v3, s17, v2
	v_sub_u32_e32 v8, 0x3f1, v4
	v_or_b32_e32 v3, 0x1000, v2
	v_med3_i32 v8, v8, 0, 13
	v_lshrrev_b32_e32 v12, v8, v3
	v_lshlrev_b32_e32 v8, v8, v12
	v_cmp_ne_u32_e32 vcc, v8, v3
	v_cndmask_b32_e64 v3, 0, 1, vcc
	v_add_u32_e32 v4, 0xfffffc10, v4
	v_or_b32_e32 v3, v12, v3
	v_lshl_or_b32 v8, v4, 12, v2
	v_cmp_gt_i32_e32 vcc, 1, v4
	v_cndmask_b32_e32 v3, v8, v3, vcc
	v_and_b32_e32 v8, 7, v3
	v_cmp_lt_i32_e32 vcc, 5, v8
	v_cmp_eq_u32_e64 s[0:1], 3, v8
	v_lshrrev_b32_e32 v12, 16, v11
	v_lshrrev_b32_e32 v3, 2, v3
	s_or_b64 vcc, s[0:1], vcc
	s_waitcnt vmcnt(6)
	v_mul_f16_sdwa v8, v12, v14 dst_sel:DWORD dst_unused:UNUSED_PAD src0_sel:DWORD src1_sel:WORD_1
	v_addc_co_u32_e32 v3, vcc, 0, v3, vcc
	v_fma_f16 v8, v11, v14, v8
	v_cmp_gt_i32_e32 vcc, 31, v4
	v_cvt_f32_f16_e32 v8, v8
	v_cndmask_b32_e32 v3, v5, v3, vcc
	v_cmp_ne_u32_e32 vcc, 0, v2
	v_cndmask_b32_e64 v2, 0, 1, vcc
	v_lshl_or_b32 v2, v2, 9, v5
	v_cmp_eq_u32_e32 vcc, s16, v4
	v_cndmask_b32_e32 v2, v3, v2, vcc
	v_cvt_f64_f32_e32 v[3:4], v8
	v_lshrrev_b32_e32 v8, 16, v9
	v_and_or_b32 v13, v8, s10, v2
	v_mov_b32_e32 v2, 0x60
	v_mul_f64 v[3:4], v[3:4], s[14:15]
	v_mad_u64_u32 v[8:9], s[0:1], s8, v2, v[18:19]
	v_and_b32_e32 v10, 0xffff, v10
	s_mul_i32 s4, s9, 0x60
	v_lshl_or_b32 v10, v13, 16, v10
	v_add_u32_e32 v9, s4, v9
	global_store_dword v[8:9], v10, off
	v_and_or_b32 v3, v4, s18, v3
	v_cmp_ne_u32_e32 vcc, 0, v3
	v_cndmask_b32_e64 v3, 0, 1, vcc
	v_lshrrev_b32_e32 v10, 8, v4
	v_bfe_u32 v13, v4, 20, 11
	v_and_or_b32 v3, v10, s17, v3
	v_sub_u32_e32 v17, 0x3f1, v13
	v_or_b32_e32 v10, 0x1000, v3
	v_med3_i32 v17, v17, 0, 13
	v_lshrrev_b32_e32 v18, v17, v10
	v_mul_f16_sdwa v11, v11, v14 dst_sel:DWORD dst_unused:UNUSED_PAD src0_sel:DWORD src1_sel:WORD_1
	v_lshlrev_b32_e32 v17, v17, v18
	v_fma_f16 v11, v14, v12, -v11
	v_cmp_ne_u32_e32 vcc, v17, v10
	v_cvt_f32_f16_e32 v11, v11
	v_cndmask_b32_e64 v10, 0, 1, vcc
	v_add_u32_e32 v13, 0xfffffc10, v13
	v_or_b32_e32 v10, v18, v10
	v_lshl_or_b32 v17, v13, 12, v3
	v_cmp_gt_i32_e32 vcc, 1, v13
	v_cndmask_b32_e32 v10, v17, v10, vcc
	v_and_b32_e32 v17, 7, v10
	v_lshrrev_b32_e32 v12, 2, v10
	v_cvt_f64_f32_e32 v[10:11], v11
	v_cmp_lt_i32_e32 vcc, 5, v17
	v_cmp_eq_u32_e64 s[0:1], 3, v17
	s_or_b64 vcc, s[0:1], vcc
	v_mul_f64 v[10:11], v[10:11], s[14:15]
	v_addc_co_u32_e32 v12, vcc, 0, v12, vcc
	v_cmp_gt_i32_e32 vcc, 31, v13
	v_cndmask_b32_e32 v12, v5, v12, vcc
	v_cmp_ne_u32_e32 vcc, 0, v3
	global_load_dword v19, v16, s[6:7] offset:384
	v_cndmask_b32_e64 v3, 0, 1, vcc
	v_lshl_or_b32 v3, v3, 9, v5
	v_cmp_eq_u32_e32 vcc, s16, v13
	v_cndmask_b32_e32 v3, v12, v3, vcc
	v_lshrrev_b32_e32 v4, 16, v4
	v_and_or_b32 v14, v4, s10, v3
	v_and_or_b32 v3, v11, s18, v10
	v_cmp_ne_u32_e32 vcc, 0, v3
	v_cndmask_b32_e64 v3, 0, 1, vcc
	v_lshrrev_b32_e32 v4, 8, v11
	v_and_or_b32 v10, v4, s17, v3
	v_bfe_u32 v4, v11, 20, 11
	v_sub_u32_e32 v12, 0x3f1, v4
	v_or_b32_e32 v3, 0x1000, v10
	v_med3_i32 v12, v12, 0, 13
	v_lshrrev_b32_e32 v13, v12, v3
	v_lshlrev_b32_e32 v12, v12, v13
	v_cmp_ne_u32_e32 vcc, v12, v3
	v_cndmask_b32_e64 v3, 0, 1, vcc
	v_add_u32_e32 v12, 0xfffffc10, v4
	v_or_b32_e32 v3, v13, v3
	v_lshl_or_b32 v4, v12, 12, v10
	v_cmp_gt_i32_e32 vcc, 1, v12
	v_cndmask_b32_e32 v3, v4, v3, vcc
	v_and_b32_e32 v4, 7, v3
	v_cmp_lt_i32_e32 vcc, 5, v4
	v_cmp_eq_u32_e64 s[0:1], 3, v4
	v_lshrrev_b32_e32 v3, 2, v3
	s_or_b64 vcc, s[0:1], vcc
	v_addc_co_u32_e32 v13, vcc, 0, v3, vcc
	ds_read2_b32 v[3:4], v6 offset0:84 offset1:96
	v_cmp_gt_i32_e32 vcc, 31, v12
	v_cndmask_b32_e32 v13, v5, v13, vcc
	v_cmp_ne_u32_e32 vcc, 0, v10
	v_cndmask_b32_e64 v10, 0, 1, vcc
	s_waitcnt lgkmcnt(0)
	v_lshrrev_b32_e32 v17, 16, v3
	s_waitcnt vmcnt(7)
	v_mul_f16_sdwa v18, v17, v7 dst_sel:DWORD dst_unused:UNUSED_PAD src0_sel:DWORD src1_sel:WORD_1
	v_fma_f16 v18, v3, v7, v18
	v_cvt_f32_f16_e32 v18, v18
	v_lshl_or_b32 v10, v10, 9, v5
	v_cmp_eq_u32_e32 vcc, s16, v12
	v_cndmask_b32_e32 v10, v13, v10, vcc
	v_cvt_f64_f32_e32 v[12:13], v18
	v_lshrrev_b32_e32 v11, 16, v11
	v_and_or_b32 v18, v11, s10, v10
	v_add_co_u32_e32 v8, vcc, s3, v8
	v_mul_f64 v[10:11], v[12:13], s[14:15]
	v_mov_b32_e32 v13, s2
	v_and_b32_e32 v14, 0xffff, v14
	v_addc_co_u32_e32 v9, vcc, v9, v13, vcc
	v_lshl_or_b32 v12, v18, 16, v14
	global_store_dword v[8:9], v12, off
	v_mul_f16_sdwa v3, v3, v7 dst_sel:DWORD dst_unused:UNUSED_PAD src0_sel:DWORD src1_sel:WORD_1
	v_and_or_b32 v10, v11, s18, v10
	v_cmp_ne_u32_e32 vcc, 0, v10
	v_cndmask_b32_e64 v10, 0, 1, vcc
	v_lshrrev_b32_e32 v12, 8, v11
	v_bfe_u32 v13, v11, 20, 11
	v_and_or_b32 v10, v12, s17, v10
	v_sub_u32_e32 v14, 0x3f1, v13
	v_or_b32_e32 v12, 0x1000, v10
	v_med3_i32 v14, v14, 0, 13
	v_lshrrev_b32_e32 v18, v14, v12
	v_lshlrev_b32_e32 v14, v14, v18
	v_cmp_ne_u32_e32 vcc, v14, v12
	v_fma_f16 v3, v7, v17, -v3
	v_cndmask_b32_e64 v12, 0, 1, vcc
	v_add_u32_e32 v14, 0xfffffc10, v13
	v_cvt_f32_f16_e32 v3, v3
	v_or_b32_e32 v12, v18, v12
	v_lshl_or_b32 v13, v14, 12, v10
	v_cmp_gt_i32_e32 vcc, 1, v14
	v_cndmask_b32_e32 v12, v13, v12, vcc
	v_and_b32_e32 v13, 7, v12
	v_cmp_lt_i32_e32 vcc, 5, v13
	v_cmp_eq_u32_e64 s[0:1], 3, v13
	v_lshrrev_b32_e32 v7, 2, v12
	v_cvt_f64_f32_e32 v[12:13], v3
	s_or_b64 vcc, s[0:1], vcc
	v_addc_co_u32_e32 v3, vcc, 0, v7, vcc
	v_mul_f64 v[12:13], v[12:13], s[14:15]
	v_cmp_gt_i32_e32 vcc, 31, v14
	global_load_dword v17, v16, s[6:7] offset:432
	global_load_dword v18, v16, s[6:7] offset:480
	v_cndmask_b32_e32 v3, v5, v3, vcc
	v_cmp_ne_u32_e32 vcc, 0, v10
	v_cndmask_b32_e64 v7, 0, 1, vcc
	v_lshl_or_b32 v7, v7, 9, v5
	v_cmp_eq_u32_e32 vcc, s16, v14
	v_cndmask_b32_e32 v3, v3, v7, vcc
	v_lshrrev_b32_e32 v7, 16, v11
	v_and_or_b32 v3, v7, s10, v3
	v_and_or_b32 v7, v13, s18, v12
	v_cmp_ne_u32_e32 vcc, 0, v7
	v_cndmask_b32_e64 v7, 0, 1, vcc
	v_lshrrev_b32_e32 v10, 8, v13
	v_bfe_u32 v11, v13, 20, 11
	v_and_or_b32 v7, v10, s17, v7
	v_sub_u32_e32 v12, 0x3f1, v11
	v_or_b32_e32 v10, 0x1000, v7
	v_med3_i32 v12, v12, 0, 13
	v_lshrrev_b32_e32 v14, v12, v10
	v_lshlrev_b32_e32 v12, v12, v14
	v_cmp_ne_u32_e32 vcc, v12, v10
	v_cndmask_b32_e64 v10, 0, 1, vcc
	v_add_u32_e32 v11, 0xfffffc10, v11
	v_or_b32_e32 v10, v14, v10
	v_lshl_or_b32 v12, v11, 12, v7
	v_cmp_gt_i32_e32 vcc, 1, v11
	v_cndmask_b32_e32 v10, v12, v10, vcc
	v_and_b32_e32 v12, 7, v10
	v_cmp_lt_i32_e32 vcc, 5, v12
	v_cmp_eq_u32_e64 s[0:1], 3, v12
	v_lshrrev_b32_e32 v12, 16, v4
	v_lshrrev_b32_e32 v10, 2, v10
	s_or_b64 vcc, s[0:1], vcc
	s_waitcnt vmcnt(3)
	v_mul_f16_sdwa v14, v12, v19 dst_sel:DWORD dst_unused:UNUSED_PAD src0_sel:DWORD src1_sel:WORD_1
	v_addc_co_u32_e32 v10, vcc, 0, v10, vcc
	v_fma_f16 v14, v4, v19, v14
	v_cmp_gt_i32_e32 vcc, 31, v11
	v_cvt_f32_f16_e32 v14, v14
	v_cndmask_b32_e32 v10, v5, v10, vcc
	v_cmp_ne_u32_e32 vcc, 0, v7
	v_cndmask_b32_e64 v7, 0, 1, vcc
	v_lshl_or_b32 v7, v7, 9, v5
	v_cmp_eq_u32_e32 vcc, s16, v11
	v_cndmask_b32_e32 v7, v10, v7, vcc
	v_cvt_f64_f32_e32 v[10:11], v14
	v_lshrrev_b32_e32 v13, 16, v13
	v_and_or_b32 v7, v13, s10, v7
	v_and_b32_e32 v3, 0xffff, v3
	v_mul_f64 v[10:11], v[10:11], s[14:15]
	v_lshl_or_b32 v3, v7, 16, v3
	v_mov_b32_e32 v13, s2
	v_add_co_u32_e32 v7, vcc, s3, v8
	v_addc_co_u32_e32 v8, vcc, v9, v13, vcc
	global_store_dword v[7:8], v3, off
	v_and_or_b32 v3, v11, s18, v10
	v_cmp_ne_u32_e32 vcc, 0, v3
	v_cndmask_b32_e64 v3, 0, 1, vcc
	v_lshrrev_b32_e32 v9, 8, v11
	v_bfe_u32 v10, v11, 20, 11
	v_and_or_b32 v9, v9, s17, v3
	v_sub_u32_e32 v14, 0x3f1, v10
	v_or_b32_e32 v3, 0x1000, v9
	v_med3_i32 v14, v14, 0, 13
	v_or_b32_e32 v13, 0x60, v15
	v_lshrrev_b32_e32 v15, v14, v3
	v_mul_f16_sdwa v4, v4, v19 dst_sel:DWORD dst_unused:UNUSED_PAD src0_sel:DWORD src1_sel:WORD_1
	v_lshlrev_b32_e32 v14, v14, v15
	v_fma_f16 v4, v19, v12, -v4
	v_cmp_ne_u32_e32 vcc, v14, v3
	v_cvt_f32_f16_e32 v4, v4
	v_cndmask_b32_e64 v3, 0, 1, vcc
	v_add_u32_e32 v10, 0xfffffc10, v10
	v_or_b32_e32 v3, v15, v3
	v_lshl_or_b32 v14, v10, 12, v9
	v_cmp_gt_i32_e32 vcc, 1, v10
	v_cndmask_b32_e32 v3, v14, v3, vcc
	v_and_b32_e32 v14, 7, v3
	v_lshrrev_b32_e32 v12, 2, v3
	v_cvt_f64_f32_e32 v[3:4], v4
	v_cmp_lt_i32_e32 vcc, 5, v14
	v_cmp_eq_u32_e64 s[0:1], 3, v14
	s_or_b64 vcc, s[0:1], vcc
	v_mul_f64 v[3:4], v[3:4], s[14:15]
	v_addc_co_u32_e32 v12, vcc, 0, v12, vcc
	v_cmp_gt_i32_e32 vcc, 31, v10
	v_cndmask_b32_e32 v12, v5, v12, vcc
	v_cmp_ne_u32_e32 vcc, 0, v9
	v_cndmask_b32_e64 v9, 0, 1, vcc
	v_lshl_or_b32 v9, v9, 9, v5
	v_cmp_eq_u32_e32 vcc, s16, v10
	v_and_or_b32 v3, v4, s18, v3
	v_cndmask_b32_e32 v9, v12, v9, vcc
	v_lshrrev_b32_e32 v10, 16, v11
	v_cmp_ne_u32_e32 vcc, 0, v3
	v_and_or_b32 v15, v10, s10, v9
	v_cndmask_b32_e64 v3, 0, 1, vcc
	v_lshrrev_b32_e32 v9, 8, v4
	v_bfe_u32 v10, v4, 20, 11
	v_and_or_b32 v3, v9, s17, v3
	v_sub_u32_e32 v11, 0x3f1, v10
	v_or_b32_e32 v9, 0x1000, v3
	v_med3_i32 v11, v11, 0, 13
	v_lshrrev_b32_e32 v12, v11, v9
	v_lshlrev_b32_e32 v11, v11, v12
	v_cmp_ne_u32_e32 vcc, v11, v9
	v_cndmask_b32_e64 v9, 0, 1, vcc
	v_add_u32_e32 v14, 0xfffffc10, v10
	v_or_b32_e32 v9, v12, v9
	v_lshl_or_b32 v10, v14, 12, v3
	v_cmp_gt_i32_e32 vcc, 1, v14
	v_cndmask_b32_e32 v9, v10, v9, vcc
	v_and_b32_e32 v10, 7, v9
	v_cmp_lt_i32_e32 vcc, 5, v10
	v_cmp_eq_u32_e64 s[0:1], 3, v10
	v_lshrrev_b32_e32 v9, 2, v9
	s_or_b64 vcc, s[0:1], vcc
	v_addc_co_u32_e32 v9, vcc, 0, v9, vcc
	ds_read2_b32 v[11:12], v6 offset0:108 offset1:120
	v_cmp_gt_i32_e32 vcc, 31, v14
	v_cndmask_b32_e32 v16, v5, v9, vcc
	v_cmp_ne_u32_e32 vcc, 0, v3
	v_mad_u64_u32 v[9:10], s[0:1], s8, v13, 0
	v_cndmask_b32_e64 v3, 0, 1, vcc
	v_lshl_or_b32 v3, v3, 9, v5
	v_cmp_eq_u32_e32 vcc, s16, v14
	v_cndmask_b32_e32 v6, v16, v3, vcc
	s_waitcnt lgkmcnt(0)
	v_lshrrev_b32_e32 v16, 16, v11
	v_mov_b32_e32 v3, v10
	s_waitcnt vmcnt(2)
	v_mul_f16_sdwa v10, v16, v17 dst_sel:DWORD dst_unused:UNUSED_PAD src0_sel:DWORD src1_sel:WORD_1
	v_fma_f16 v10, v11, v17, v10
	v_cvt_f32_f16_e32 v10, v10
	v_mad_u64_u32 v[13:14], s[0:1], s9, v13, v[3:4]
	v_lshrrev_b32_e32 v14, 16, v4
	v_cvt_f64_f32_e32 v[3:4], v10
	v_mov_b32_e32 v10, v13
	v_lshlrev_b64 v[9:10], 2, v[9:10]
	v_and_or_b32 v6, v14, s10, v6
	v_mul_f64 v[3:4], v[3:4], s[14:15]
	v_and_b32_e32 v13, 0xffff, v15
	v_add_co_u32_e32 v0, vcc, v0, v9
	v_lshl_or_b32 v6, v6, 16, v13
	v_addc_co_u32_e32 v1, vcc, v1, v10, vcc
	global_store_dword v[0:1], v6, off
	v_and_or_b32 v0, v4, s18, v3
	v_cmp_ne_u32_e32 vcc, 0, v0
	v_cndmask_b32_e64 v0, 0, 1, vcc
	v_lshrrev_b32_e32 v1, 8, v4
	v_and_or_b32 v3, v1, s17, v0
	v_bfe_u32 v1, v4, 20, 11
	v_sub_u32_e32 v6, 0x3f1, v1
	v_or_b32_e32 v0, 0x1000, v3
	v_med3_i32 v6, v6, 0, 13
	v_lshrrev_b32_e32 v9, v6, v0
	v_lshlrev_b32_e32 v6, v6, v9
	v_cmp_ne_u32_e32 vcc, v6, v0
	v_cndmask_b32_e64 v0, 0, 1, vcc
	v_or_b32_e32 v0, v9, v0
	v_mul_f16_sdwa v9, v11, v17 dst_sel:DWORD dst_unused:UNUSED_PAD src0_sel:DWORD src1_sel:WORD_1
	v_fma_f16 v9, v17, v16, -v9
	v_add_u32_e32 v6, 0xfffffc10, v1
	v_cvt_f32_f16_e32 v9, v9
	v_lshl_or_b32 v1, v6, 12, v3
	v_cmp_gt_i32_e32 vcc, 1, v6
	v_cndmask_b32_e32 v0, v1, v0, vcc
	v_and_b32_e32 v1, 7, v0
	v_cmp_lt_i32_e32 vcc, 5, v1
	v_cmp_eq_u32_e64 s[0:1], 3, v1
	v_lshrrev_b32_e32 v10, 2, v0
	v_cvt_f64_f32_e32 v[0:1], v9
	s_or_b64 vcc, s[0:1], vcc
	v_addc_co_u32_e32 v9, vcc, 0, v10, vcc
	v_mul_f64 v[0:1], v[0:1], s[14:15]
	v_cmp_gt_i32_e32 vcc, 31, v6
	v_cndmask_b32_e32 v9, v5, v9, vcc
	v_cmp_ne_u32_e32 vcc, 0, v3
	v_cndmask_b32_e64 v3, 0, 1, vcc
	v_lshl_or_b32 v3, v3, 9, v5
	v_cmp_eq_u32_e32 vcc, s16, v6
	v_cndmask_b32_e32 v3, v9, v3, vcc
	v_and_or_b32 v0, v1, s18, v0
	v_lshrrev_b32_e32 v4, 16, v4
	v_cmp_ne_u32_e32 vcc, 0, v0
	v_and_or_b32 v6, v4, s10, v3
	v_cndmask_b32_e64 v0, 0, 1, vcc
	v_lshrrev_b32_e32 v3, 8, v1
	v_bfe_u32 v4, v1, 20, 11
	v_and_or_b32 v0, v3, s17, v0
	v_sub_u32_e32 v9, 0x3f1, v4
	v_or_b32_e32 v3, 0x1000, v0
	v_med3_i32 v9, v9, 0, 13
	v_lshrrev_b32_e32 v10, v9, v3
	v_lshlrev_b32_e32 v9, v9, v10
	v_cmp_ne_u32_e32 vcc, v9, v3
	v_cndmask_b32_e64 v3, 0, 1, vcc
	v_add_u32_e32 v9, 0xfffffc10, v4
	v_or_b32_e32 v3, v10, v3
	v_lshl_or_b32 v4, v9, 12, v0
	v_cmp_gt_i32_e32 vcc, 1, v9
	v_cndmask_b32_e32 v3, v4, v3, vcc
	v_and_b32_e32 v4, 7, v3
	v_cmp_lt_i32_e32 vcc, 5, v4
	v_cmp_eq_u32_e64 s[0:1], 3, v4
	v_lshrrev_b32_e32 v3, 2, v3
	s_or_b64 vcc, s[0:1], vcc
	v_addc_co_u32_e32 v3, vcc, 0, v3, vcc
	v_cmp_gt_i32_e32 vcc, 31, v9
	v_lshrrev_b32_e32 v11, 16, v12
	v_cndmask_b32_e32 v10, v5, v3, vcc
	s_waitcnt vmcnt(2)
	v_mul_f16_sdwa v3, v11, v18 dst_sel:DWORD dst_unused:UNUSED_PAD src0_sel:DWORD src1_sel:WORD_1
	v_fma_f16 v3, v12, v18, v3
	v_cvt_f32_f16_e32 v3, v3
	v_cmp_ne_u32_e32 vcc, 0, v0
	v_cndmask_b32_e64 v0, 0, 1, vcc
	v_lshl_or_b32 v0, v0, 9, v5
	v_cvt_f64_f32_e32 v[3:4], v3
	v_cmp_eq_u32_e32 vcc, s16, v9
	v_cndmask_b32_e32 v9, v10, v0, vcc
	v_lshrrev_b32_e32 v10, 16, v1
	v_mul_f64 v[0:1], v[3:4], s[14:15]
	v_mad_u64_u32 v[2:3], s[0:1], s8, v2, v[7:8]
	v_and_or_b32 v4, v10, s10, v9
	v_and_b32_e32 v6, 0xffff, v6
	v_lshl_or_b32 v4, v4, 16, v6
	v_add_u32_e32 v3, s4, v3
	global_store_dword v[2:3], v4, off
	v_and_or_b32 v0, v1, s18, v0
	v_cmp_ne_u32_e32 vcc, 0, v0
	v_cndmask_b32_e64 v0, 0, 1, vcc
	v_lshrrev_b32_e32 v4, 8, v1
	v_bfe_u32 v6, v1, 20, 11
	v_and_or_b32 v0, v4, s17, v0
	v_sub_u32_e32 v7, 0x3f1, v6
	v_or_b32_e32 v4, 0x1000, v0
	v_med3_i32 v7, v7, 0, 13
	v_lshrrev_b32_e32 v8, v7, v4
	v_lshlrev_b32_e32 v7, v7, v8
	v_cmp_ne_u32_e32 vcc, v7, v4
	v_mul_f16_sdwa v7, v12, v18 dst_sel:DWORD dst_unused:UNUSED_PAD src0_sel:DWORD src1_sel:WORD_1
	v_cndmask_b32_e64 v4, 0, 1, vcc
	v_fma_f16 v7, v18, v11, -v7
	v_or_b32_e32 v4, v8, v4
	v_add_u32_e32 v8, 0xfffffc10, v6
	v_cvt_f32_f16_e32 v7, v7
	v_lshl_or_b32 v6, v8, 12, v0
	v_cmp_gt_i32_e32 vcc, 1, v8
	v_cndmask_b32_e32 v4, v6, v4, vcc
	v_and_b32_e32 v6, 7, v4
	v_cmp_lt_i32_e32 vcc, 5, v6
	v_cmp_eq_u32_e64 s[0:1], 3, v6
	v_cvt_f64_f32_e32 v[6:7], v7
	v_lshrrev_b32_e32 v4, 2, v4
	s_or_b64 vcc, s[0:1], vcc
	v_addc_co_u32_e32 v4, vcc, 0, v4, vcc
	v_mul_f64 v[6:7], v[6:7], s[14:15]
	v_cmp_gt_i32_e32 vcc, 31, v8
	v_cndmask_b32_e32 v4, v5, v4, vcc
	v_cmp_ne_u32_e32 vcc, 0, v0
	v_cndmask_b32_e64 v0, 0, 1, vcc
	v_lshl_or_b32 v0, v0, 9, v5
	v_cmp_eq_u32_e32 vcc, s16, v8
	v_cndmask_b32_e32 v0, v4, v0, vcc
	v_lshrrev_b32_e32 v1, 16, v1
	v_and_or_b32 v0, v1, s10, v0
	v_and_or_b32 v1, v7, s18, v6
	v_cmp_ne_u32_e32 vcc, 0, v1
	v_cndmask_b32_e64 v1, 0, 1, vcc
	v_lshrrev_b32_e32 v4, 8, v7
	v_bfe_u32 v6, v7, 20, 11
	v_and_or_b32 v1, v4, s17, v1
	v_sub_u32_e32 v8, 0x3f1, v6
	v_or_b32_e32 v4, 0x1000, v1
	v_med3_i32 v8, v8, 0, 13
	v_lshrrev_b32_e32 v9, v8, v4
	v_lshlrev_b32_e32 v8, v8, v9
	v_cmp_ne_u32_e32 vcc, v8, v4
	v_cndmask_b32_e64 v4, 0, 1, vcc
	v_add_u32_e32 v6, 0xfffffc10, v6
	v_or_b32_e32 v4, v9, v4
	v_lshl_or_b32 v8, v6, 12, v1
	v_cmp_gt_i32_e32 vcc, 1, v6
	v_cndmask_b32_e32 v4, v8, v4, vcc
	v_and_b32_e32 v8, 7, v4
	v_cmp_lt_i32_e32 vcc, 5, v8
	v_cmp_eq_u32_e64 s[0:1], 3, v8
	v_lshrrev_b32_e32 v4, 2, v4
	s_or_b64 vcc, s[0:1], vcc
	v_addc_co_u32_e32 v4, vcc, 0, v4, vcc
	v_cmp_gt_i32_e32 vcc, 31, v6
	v_cndmask_b32_e32 v4, v5, v4, vcc
	v_cmp_ne_u32_e32 vcc, 0, v1
	v_cndmask_b32_e64 v1, 0, 1, vcc
	v_lshl_or_b32 v1, v1, 9, v5
	v_cmp_eq_u32_e32 vcc, s16, v6
	v_cndmask_b32_e32 v1, v4, v1, vcc
	v_lshrrev_b32_e32 v4, 16, v7
	v_and_or_b32 v1, v4, s10, v1
	v_and_b32_e32 v0, 0xffff, v0
	v_lshl_or_b32 v4, v1, 16, v0
	v_mov_b32_e32 v1, s2
	v_add_co_u32_e32 v0, vcc, s3, v2
	v_addc_co_u32_e32 v1, vcc, v3, v1, vcc
	global_store_dword v[0:1], v4, off
.LBB0_15:
	s_endpgm
	.section	.rodata,"a",@progbits
	.p2align	6, 0x0
	.amdhsa_kernel bluestein_single_fwd_len132_dim1_half_op_CI_CI
		.amdhsa_group_segment_fixed_size 2640
		.amdhsa_private_segment_fixed_size 0
		.amdhsa_kernarg_size 104
		.amdhsa_user_sgpr_count 6
		.amdhsa_user_sgpr_private_segment_buffer 1
		.amdhsa_user_sgpr_dispatch_ptr 0
		.amdhsa_user_sgpr_queue_ptr 0
		.amdhsa_user_sgpr_kernarg_segment_ptr 1
		.amdhsa_user_sgpr_dispatch_id 0
		.amdhsa_user_sgpr_flat_scratch_init 0
		.amdhsa_user_sgpr_private_segment_size 0
		.amdhsa_uses_dynamic_stack 0
		.amdhsa_system_sgpr_private_segment_wavefront_offset 0
		.amdhsa_system_sgpr_workgroup_id_x 1
		.amdhsa_system_sgpr_workgroup_id_y 0
		.amdhsa_system_sgpr_workgroup_id_z 0
		.amdhsa_system_sgpr_workgroup_info 0
		.amdhsa_system_vgpr_workitem_id 0
		.amdhsa_next_free_vgpr 118
		.amdhsa_next_free_sgpr 25
		.amdhsa_reserve_vcc 1
		.amdhsa_reserve_flat_scratch 0
		.amdhsa_float_round_mode_32 0
		.amdhsa_float_round_mode_16_64 0
		.amdhsa_float_denorm_mode_32 3
		.amdhsa_float_denorm_mode_16_64 3
		.amdhsa_dx10_clamp 1
		.amdhsa_ieee_mode 1
		.amdhsa_fp16_overflow 0
		.amdhsa_exception_fp_ieee_invalid_op 0
		.amdhsa_exception_fp_denorm_src 0
		.amdhsa_exception_fp_ieee_div_zero 0
		.amdhsa_exception_fp_ieee_overflow 0
		.amdhsa_exception_fp_ieee_underflow 0
		.amdhsa_exception_fp_ieee_inexact 0
		.amdhsa_exception_int_div_zero 0
	.end_amdhsa_kernel
	.text
.Lfunc_end0:
	.size	bluestein_single_fwd_len132_dim1_half_op_CI_CI, .Lfunc_end0-bluestein_single_fwd_len132_dim1_half_op_CI_CI
                                        ; -- End function
	.section	.AMDGPU.csdata,"",@progbits
; Kernel info:
; codeLenInByte = 14260
; NumSgprs: 29
; NumVgprs: 118
; ScratchSize: 0
; MemoryBound: 0
; FloatMode: 240
; IeeeMode: 1
; LDSByteSize: 2640 bytes/workgroup (compile time only)
; SGPRBlocks: 3
; VGPRBlocks: 29
; NumSGPRsForWavesPerEU: 29
; NumVGPRsForWavesPerEU: 118
; Occupancy: 2
; WaveLimiterHint : 1
; COMPUTE_PGM_RSRC2:SCRATCH_EN: 0
; COMPUTE_PGM_RSRC2:USER_SGPR: 6
; COMPUTE_PGM_RSRC2:TRAP_HANDLER: 0
; COMPUTE_PGM_RSRC2:TGID_X_EN: 1
; COMPUTE_PGM_RSRC2:TGID_Y_EN: 0
; COMPUTE_PGM_RSRC2:TGID_Z_EN: 0
; COMPUTE_PGM_RSRC2:TIDIG_COMP_CNT: 0
	.type	__hip_cuid_bb0be09b5b40f7cd,@object ; @__hip_cuid_bb0be09b5b40f7cd
	.section	.bss,"aw",@nobits
	.globl	__hip_cuid_bb0be09b5b40f7cd
__hip_cuid_bb0be09b5b40f7cd:
	.byte	0                               ; 0x0
	.size	__hip_cuid_bb0be09b5b40f7cd, 1

	.ident	"AMD clang version 19.0.0git (https://github.com/RadeonOpenCompute/llvm-project roc-6.4.0 25133 c7fe45cf4b819c5991fe208aaa96edf142730f1d)"
	.section	".note.GNU-stack","",@progbits
	.addrsig
	.addrsig_sym __hip_cuid_bb0be09b5b40f7cd
	.amdgpu_metadata
---
amdhsa.kernels:
  - .args:
      - .actual_access:  read_only
        .address_space:  global
        .offset:         0
        .size:           8
        .value_kind:     global_buffer
      - .actual_access:  read_only
        .address_space:  global
        .offset:         8
        .size:           8
        .value_kind:     global_buffer
      - .actual_access:  read_only
        .address_space:  global
        .offset:         16
        .size:           8
        .value_kind:     global_buffer
      - .actual_access:  read_only
        .address_space:  global
        .offset:         24
        .size:           8
        .value_kind:     global_buffer
      - .actual_access:  read_only
        .address_space:  global
        .offset:         32
        .size:           8
        .value_kind:     global_buffer
      - .offset:         40
        .size:           8
        .value_kind:     by_value
      - .address_space:  global
        .offset:         48
        .size:           8
        .value_kind:     global_buffer
      - .address_space:  global
        .offset:         56
        .size:           8
        .value_kind:     global_buffer
      - .address_space:  global
        .offset:         64
        .size:           8
        .value_kind:     global_buffer
      - .address_space:  global
        .offset:         72
        .size:           8
        .value_kind:     global_buffer
      - .offset:         80
        .size:           4
        .value_kind:     by_value
      - .address_space:  global
        .offset:         88
        .size:           8
        .value_kind:     global_buffer
      - .address_space:  global
        .offset:         96
        .size:           8
        .value_kind:     global_buffer
    .group_segment_fixed_size: 2640
    .kernarg_segment_align: 8
    .kernarg_segment_size: 104
    .language:       OpenCL C
    .language_version:
      - 2
      - 0
    .max_flat_workgroup_size: 110
    .name:           bluestein_single_fwd_len132_dim1_half_op_CI_CI
    .private_segment_fixed_size: 0
    .sgpr_count:     29
    .sgpr_spill_count: 0
    .symbol:         bluestein_single_fwd_len132_dim1_half_op_CI_CI.kd
    .uniform_work_group_size: 1
    .uses_dynamic_stack: false
    .vgpr_count:     118
    .vgpr_spill_count: 0
    .wavefront_size: 64
amdhsa.target:   amdgcn-amd-amdhsa--gfx906
amdhsa.version:
  - 1
  - 2
...

	.end_amdgpu_metadata
